;; amdgpu-corpus repo=ROCm/rocm-examples kind=compiled arch=gfx1100 opt=O3
	.text
	.amdgcn_target "amdgcn-amd-amdhsa--gfx1100"
	.amdhsa_code_object_version 6
	.protected	_Z5emptyiPd             ; -- Begin function _Z5emptyiPd
	.globl	_Z5emptyiPd
	.p2align	8
	.type	_Z5emptyiPd,@function
_Z5emptyiPd:                            ; @_Z5emptyiPd
; %bb.0:
	s_endpgm
	.section	.rodata,"a",@progbits
	.p2align	6, 0x0
	.amdhsa_kernel _Z5emptyiPd
		.amdhsa_group_segment_fixed_size 0
		.amdhsa_private_segment_fixed_size 0
		.amdhsa_kernarg_size 16
		.amdhsa_user_sgpr_count 15
		.amdhsa_user_sgpr_dispatch_ptr 0
		.amdhsa_user_sgpr_queue_ptr 0
		.amdhsa_user_sgpr_kernarg_segment_ptr 1
		.amdhsa_user_sgpr_dispatch_id 0
		.amdhsa_user_sgpr_private_segment_size 0
		.amdhsa_wavefront_size32 1
		.amdhsa_uses_dynamic_stack 0
		.amdhsa_enable_private_segment 0
		.amdhsa_system_sgpr_workgroup_id_x 1
		.amdhsa_system_sgpr_workgroup_id_y 0
		.amdhsa_system_sgpr_workgroup_id_z 0
		.amdhsa_system_sgpr_workgroup_info 0
		.amdhsa_system_vgpr_workitem_id 0
		.amdhsa_next_free_vgpr 1
		.amdhsa_next_free_sgpr 1
		.amdhsa_reserve_vcc 0
		.amdhsa_float_round_mode_32 0
		.amdhsa_float_round_mode_16_64 0
		.amdhsa_float_denorm_mode_32 3
		.amdhsa_float_denorm_mode_16_64 3
		.amdhsa_dx10_clamp 1
		.amdhsa_ieee_mode 1
		.amdhsa_fp16_overflow 0
		.amdhsa_workgroup_processor_mode 1
		.amdhsa_memory_ordered 1
		.amdhsa_forward_progress 0
		.amdhsa_shared_vgpr_count 0
		.amdhsa_exception_fp_ieee_invalid_op 0
		.amdhsa_exception_fp_denorm_src 0
		.amdhsa_exception_fp_ieee_div_zero 0
		.amdhsa_exception_fp_ieee_overflow 0
		.amdhsa_exception_fp_ieee_underflow 0
		.amdhsa_exception_fp_ieee_inexact 0
		.amdhsa_exception_int_div_zero 0
	.end_amdhsa_kernel
	.text
.Lfunc_end0:
	.size	_Z5emptyiPd, .Lfunc_end0-_Z5emptyiPd
                                        ; -- End function
	.section	.AMDGPU.csdata,"",@progbits
; Kernel info:
; codeLenInByte = 4
; NumSgprs: 0
; NumVgprs: 0
; ScratchSize: 0
; MemoryBound: 0
; FloatMode: 240
; IeeeMode: 1
; LDSByteSize: 0 bytes/workgroup (compile time only)
; SGPRBlocks: 0
; VGPRBlocks: 0
; NumSGPRsForWavesPerEU: 1
; NumVGPRsForWavesPerEU: 1
; Occupancy: 16
; WaveLimiterHint : 0
; COMPUTE_PGM_RSRC2:SCRATCH_EN: 0
; COMPUTE_PGM_RSRC2:USER_SGPR: 15
; COMPUTE_PGM_RSRC2:TRAP_HANDLER: 0
; COMPUTE_PGM_RSRC2:TGID_X_EN: 1
; COMPUTE_PGM_RSRC2:TGID_Y_EN: 0
; COMPUTE_PGM_RSRC2:TGID_Z_EN: 0
; COMPUTE_PGM_RSRC2:TIDIG_COMP_CNT: 0
	.text
	.protected	_Z9vgprboundiPd         ; -- Begin function _Z9vgprboundiPd
	.globl	_Z9vgprboundiPd
	.p2align	8
	.type	_Z9vgprboundiPd,@function
_Z9vgprboundiPd:                        ; @_Z9vgprboundiPd
; %bb.0:
	s_clause 0x1
	s_load_b64 s[2:3], s[0:1], 0x8
	s_load_b32 s33, s[0:1], 0x0
	v_lshlrev_b32_e32 v2, 3, v0
	s_mov_b32 s12, 0x55555555
	s_mov_b32 s60, 0x11110bb3
	;; [unrolled: 1-line block ×18, first 2 shown]
	s_waitcnt lgkmcnt(0)
	v_mul_lo_u32 v0, v0, s33
	s_mov_b32 s40, 0xd5df274d
	s_mov_b32 s42, 0x652b82fe
	;; [unrolled: 1-line block ×7, first 2 shown]
	v_cvt_f64_u32_e32 v[0:1], v0
	v_mov_b32_e32 v36, 0
	s_mov_b32 s58, 0x1852b7b0
	s_mov_b32 s66, 0x55555511
	;; [unrolled: 1-line block ×36, first 2 shown]
	v_mov_b32_e32 v5, v1
	global_load_b64 v[32:33], v2, s[2:3]
	v_add_co_u32 v34, s0, s2, v2
	v_dual_mov_b32 v3, v1 :: v_dual_mov_b32 v2, v0
	v_dual_mov_b32 v7, v1 :: v_dual_mov_b32 v4, v0
	v_dual_mov_b32 v9, v1 :: v_dual_mov_b32 v6, v0
	v_dual_mov_b32 v11, v1 :: v_dual_mov_b32 v8, v0
	v_dual_mov_b32 v13, v1 :: v_dual_mov_b32 v10, v0
	v_dual_mov_b32 v15, v1 :: v_dual_mov_b32 v12, v0
	v_dual_mov_b32 v17, v1 :: v_dual_mov_b32 v14, v0
	v_dual_mov_b32 v19, v1 :: v_dual_mov_b32 v16, v0
	v_dual_mov_b32 v21, v1 :: v_dual_mov_b32 v18, v0
	v_dual_mov_b32 v23, v1 :: v_dual_mov_b32 v20, v0
	v_dual_mov_b32 v25, v1 :: v_dual_mov_b32 v22, v0
	v_dual_mov_b32 v27, v1 :: v_dual_mov_b32 v24, v0
	v_dual_mov_b32 v29, v1 :: v_dual_mov_b32 v26, v0
	v_mov_b32_e32 v31, v1
	v_add_co_ci_u32_e64 v35, null, s3, 0, s0
	v_mov_b32_e32 v28, v0
	v_mov_b32_e32 v30, v0
	s_mov_b32 s49, 0x3e928af3
	s_mov_b32 s51, 0x3e5ade15
	;; [unrolled: 1-line block ×28, first 2 shown]
	s_branch .LBB1_2
.LBB1_1:                                ;   in Loop: Header=BB1_2 Depth=1
	s_or_b32 exec_lo, exec_lo, s0
	v_mul_f64 v[46:47], v[40:41], v[40:41]
	s_delay_alu instid0(VALU_DEP_2)
	v_mul_f64 v[56:57], v[42:43], 0.5
	s_mov_b32 s98, s12
	v_cmp_lg_f64_e64 s1, 0x7ff00000, v[38:39]
	v_and_b32_e32 v37, 1, v45
	v_cndmask_b32_e64 v38, v44, 0x7ff80000, vcc_lo
	v_lshlrev_b32_e32 v39, 30, v45
	s_add_i32 s100, s100, 1
	s_mov_b32 m0, s101
	v_cmp_eq_u32_e64 s0, 0, v37
	s_cmpk_eq_i32 s100, 0x64
	v_xor_b32_e32 v38, v39, v38
	s_delay_alu instid0(VALU_DEP_1) | instskip(SKIP_4) | instid1(VALU_DEP_4)
	v_and_b32_e32 v38, 0x80000000, v38
	v_fma_f64 v[48:49], v[46:47], s[88:89], s[86:87]
	v_fma_f64 v[50:51], v[46:47], s[78:79], s[76:77]
	v_mul_f64 v[52:53], v[46:47], 0.5
	v_mul_f64 v[58:59], v[40:41], -v[46:47]
	v_fma_f64 v[48:49], v[46:47], v[48:49], s[90:91]
	s_delay_alu instid0(VALU_DEP_4) | instskip(NEXT) | instid1(VALU_DEP_4)
	v_fma_f64 v[50:51], v[46:47], v[50:51], s[80:81]
	v_add_f64 v[54:55], -v[52:53], 1.0
	s_delay_alu instid0(VALU_DEP_3) | instskip(NEXT) | instid1(VALU_DEP_3)
	v_fma_f64 v[48:49], v[46:47], v[48:49], s[92:93]
	v_fma_f64 v[50:51], v[46:47], v[50:51], s[82:83]
	s_delay_alu instid0(VALU_DEP_3) | instskip(NEXT) | instid1(VALU_DEP_3)
	v_add_f64 v[60:61], -v[54:55], 1.0
	v_fma_f64 v[48:49], v[46:47], v[48:49], s[60:61]
	s_delay_alu instid0(VALU_DEP_3) | instskip(NEXT) | instid1(VALU_DEP_3)
	v_fma_f64 v[50:51], v[46:47], v[50:51], s[84:85]
	v_add_f64 v[52:53], v[60:61], -v[52:53]
	s_delay_alu instid0(VALU_DEP_3) | instskip(SKIP_1) | instid1(VALU_DEP_4)
	v_fma_f64 v[48:49], v[58:59], v[48:49], v[56:57]
	v_mul_f64 v[56:57], v[46:47], v[46:47]
	v_fma_f64 v[50:51], v[46:47], v[50:51], s[12:13]
	s_delay_alu instid0(VALU_DEP_4) | instskip(NEXT) | instid1(VALU_DEP_4)
	v_fma_f64 v[52:53], v[40:41], -v[42:43], v[52:53]
	v_fma_f64 v[42:43], v[46:47], v[48:49], -v[42:43]
	s_delay_alu instid0(VALU_DEP_2) | instskip(NEXT) | instid1(VALU_DEP_2)
	v_fma_f64 v[46:47], v[56:57], v[50:51], v[52:53]
	v_fma_f64 v[42:43], v[58:59], s[98:99], v[42:43]
	s_delay_alu instid0(VALU_DEP_2) | instskip(NEXT) | instid1(VALU_DEP_2)
	v_add_f64 v[46:47], v[54:55], v[46:47]
	v_add_f64 v[40:41], v[40:41], -v[42:43]
	s_delay_alu instid0(VALU_DEP_1) | instskip(NEXT) | instid1(VALU_DEP_2)
	v_cndmask_b32_e64 v39, v47, v41, s0
	v_cndmask_b32_e64 v37, v46, v40, s0
	s_delay_alu instid0(VALU_DEP_2) | instskip(NEXT) | instid1(VALU_DEP_2)
	v_xor_b32_e32 v38, v39, v38
	v_cndmask_b32_e64 v37, 0, v37, s1
	s_delay_alu instid0(VALU_DEP_2) | instskip(NEXT) | instid1(VALU_DEP_1)
	v_cndmask_b32_e64 v38, 0x7ff80000, v38, s1
	v_add_f64 v[32:33], v[32:33], v[37:38]
	s_delay_alu instid0(VALU_DEP_1) | instskip(NEXT) | instid1(VALU_DEP_2)
	v_movreld_b32_e32 v0, v32
	v_movreld_b32_e32 v1, v33
	s_cbranch_scc1 .LBB1_10
.LBB1_2:                                ; =>This Loop Header: Depth=1
                                        ;     Child Loop BB1_3 Depth 2
                                        ;     Child Loop BB1_5 Depth 2
	v_add_nc_u16 v39, s100, -1
	s_lshl_b32 s0, s100, 2
	s_delay_alu instid0(SALU_CYCLE_1) | instskip(NEXT) | instid1(VALU_DEP_1)
	s_and_b32 s0, s0, 0x7c
	v_bfe_i32 v37, v39, 0, 8
	v_mov_b32_e32 v38, s0
	s_mov_b32 s0, exec_lo
	s_delay_alu instid0(VALU_DEP_2) | instskip(NEXT) | instid1(VALU_DEP_1)
	v_lshrrev_b16 v37, 11, v37
	v_and_b32_e32 v37, 15, v37
	s_delay_alu instid0(VALU_DEP_1) | instskip(SKIP_4) | instid1(VALU_DEP_1)
	v_add_nc_u16 v40, v39, v37
	s_waitcnt vmcnt(0)
	ds_bpermute_b32 v37, v38, v32
	ds_bpermute_b32 v38, v38, v33
	v_and_b32_e32 v40, 0xf0, v40
	v_sub_nc_u16 v39, v39, v40
	s_delay_alu instid0(VALU_DEP_1) | instskip(NEXT) | instid1(VALU_DEP_1)
	v_bfe_i32 v39, v39, 0, 8
	v_lshlrev_b32_e32 v41, 1, v39
.LBB1_3:                                ;   Parent Loop BB1_2 Depth=1
                                        ; =>  This Inner Loop Header: Depth=2
	s_delay_alu instid0(VALU_DEP_1) | instskip(NEXT) | instid1(VALU_DEP_1)
	v_readfirstlane_b32 s1, v41
	v_cmp_eq_u32_e32 vcc_lo, s1, v41
	s_and_saveexec_b32 vcc_lo, vcc_lo
	s_mov_b32 m0, s1
	v_movrels_b32_e32 v40, v1
	s_xor_b32 exec_lo, exec_lo, vcc_lo
	s_cbranch_execnz .LBB1_3
; %bb.4:                                ;   in Loop: Header=BB1_2 Depth=1
	s_mov_b32 exec_lo, s0
	s_delay_alu instid0(SALU_CYCLE_1)
	s_mov_b32 s0, exec_lo
.LBB1_5:                                ;   Parent Loop BB1_2 Depth=1
                                        ; =>  This Inner Loop Header: Depth=2
	v_readfirstlane_b32 s1, v41
	s_delay_alu instid0(VALU_DEP_1)
	v_cmp_eq_u32_e32 vcc_lo, s1, v41
	s_and_saveexec_b32 vcc_lo, vcc_lo
	s_mov_b32 m0, s1
	v_movrels_b32_e32 v39, v0
	s_xor_b32 exec_lo, exec_lo, vcc_lo
	s_cbranch_execnz .LBB1_5
; %bb.6:                                ;   in Loop: Header=BB1_2 Depth=1
	s_mov_b32 exec_lo, s0
	s_waitcnt lgkmcnt(0)
	v_mul_f64 v[38:39], v[39:40], v[37:38]
	s_and_b32 s0, s100, 15
	s_delay_alu instid0(SALU_CYCLE_1) | instskip(NEXT) | instid1(SALU_CYCLE_1)
	s_lshl_b32 s101, s0, 1
	s_mov_b32 m0, s101
	v_movrels_b32_e32 v64, v1
	v_movrels_b32_e32 v37, v0
	s_delay_alu instid0(VALU_DEP_3) | instskip(NEXT) | instid1(VALU_DEP_1)
	v_cmp_eq_f64_e64 s0, 1.0, v[38:39]
	v_cndmask_b32_e64 v41, v64, 0x3ff00000, s0
	s_delay_alu instid0(VALU_DEP_3) | instskip(SKIP_1) | instid1(VALU_DEP_2)
	v_cndmask_b32_e64 v40, v37, 0, s0
	v_and_b32_e32 v37, 0x7fffffff, v39
	v_cmp_eq_f64_e32 vcc_lo, 0, v[40:41]
	s_delay_alu instid0(VALU_DEP_2) | instskip(SKIP_3) | instid1(VALU_DEP_3)
	v_cndmask_b32_e64 v43, v37, 0x3ff00000, vcc_lo
	v_cndmask_b32_e64 v42, v38, 0, vcc_lo
	;; [unrolled: 1-line block ×4, first 2 shown]
	v_frexp_mant_f64_e32 v[44:45], v[42:43]
	v_cmp_eq_f64_e32 vcc_lo, 1.0, v[42:43]
	v_cmp_gt_f64_e64 s6, 1.0, v[42:43]
	s_delay_alu instid0(VALU_DEP_3) | instskip(NEXT) | instid1(VALU_DEP_1)
	v_cmp_gt_f64_e64 s1, s[10:11], v[44:45]
	v_cndmask_b32_e64 v37, 0x3ff00000, 2.0, s1
	s_delay_alu instid0(VALU_DEP_1) | instskip(SKIP_1) | instid1(VALU_DEP_2)
	v_mul_f64 v[44:45], v[44:45], v[36:37]
	v_frexp_exp_i32_f64_e32 v37, v[42:43]
	v_add_f64 v[46:47], v[44:45], 1.0
	v_add_f64 v[52:53], v[44:45], -1.0
	s_delay_alu instid0(VALU_DEP_3) | instskip(NEXT) | instid1(VALU_DEP_3)
	v_subrev_co_ci_u32_e64 v37, s1, 0, v37, s1
	v_rcp_f64_e32 v[48:49], v[46:47]
	v_add_f64 v[54:55], v[46:47], -1.0
	s_delay_alu instid0(VALU_DEP_1) | instskip(SKIP_2) | instid1(VALU_DEP_1)
	v_add_f64 v[44:45], v[44:45], -v[54:55]
	s_waitcnt_depctr 0xfff
	v_fma_f64 v[50:51], -v[46:47], v[48:49], 1.0
	v_fma_f64 v[48:49], v[50:51], v[48:49], v[48:49]
	s_delay_alu instid0(VALU_DEP_1) | instskip(NEXT) | instid1(VALU_DEP_1)
	v_fma_f64 v[50:51], -v[46:47], v[48:49], 1.0
	v_fma_f64 v[48:49], v[50:51], v[48:49], v[48:49]
	s_delay_alu instid0(VALU_DEP_1) | instskip(NEXT) | instid1(VALU_DEP_1)
	v_mul_f64 v[50:51], v[52:53], v[48:49]
	v_mul_f64 v[56:57], v[46:47], v[50:51]
	s_delay_alu instid0(VALU_DEP_1) | instskip(NEXT) | instid1(VALU_DEP_1)
	v_fma_f64 v[46:47], v[50:51], v[46:47], -v[56:57]
	v_fma_f64 v[44:45], v[50:51], v[44:45], v[46:47]
	s_delay_alu instid0(VALU_DEP_1) | instskip(NEXT) | instid1(VALU_DEP_1)
	v_add_f64 v[46:47], v[56:57], v[44:45]
	v_add_f64 v[54:55], v[52:53], -v[46:47]
	v_add_f64 v[56:57], v[46:47], -v[56:57]
	s_delay_alu instid0(VALU_DEP_2) | instskip(NEXT) | instid1(VALU_DEP_2)
	v_add_f64 v[52:53], v[52:53], -v[54:55]
	v_add_f64 v[44:45], v[56:57], -v[44:45]
	s_delay_alu instid0(VALU_DEP_2) | instskip(NEXT) | instid1(VALU_DEP_1)
	v_add_f64 v[46:47], v[52:53], -v[46:47]
	v_add_f64 v[44:45], v[44:45], v[46:47]
	s_delay_alu instid0(VALU_DEP_1) | instskip(NEXT) | instid1(VALU_DEP_1)
	v_add_f64 v[44:45], v[54:55], v[44:45]
	v_mul_f64 v[44:45], v[48:49], v[44:45]
	s_delay_alu instid0(VALU_DEP_1) | instskip(NEXT) | instid1(VALU_DEP_1)
	v_add_f64 v[46:47], v[50:51], v[44:45]
	v_add_f64 v[48:49], v[46:47], -v[50:51]
	v_mul_f64 v[50:51], v[46:47], v[46:47]
	s_delay_alu instid0(VALU_DEP_2) | instskip(NEXT) | instid1(VALU_DEP_2)
	v_add_f64 v[44:45], v[44:45], -v[48:49]
	v_fma_f64 v[48:49], v[46:47], v[46:47], -v[50:51]
	s_delay_alu instid0(VALU_DEP_2) | instskip(NEXT) | instid1(VALU_DEP_1)
	v_add_f64 v[52:53], v[44:45], v[44:45]
	v_fma_f64 v[48:49], v[46:47], v[52:53], v[48:49]
	s_delay_alu instid0(VALU_DEP_1) | instskip(NEXT) | instid1(VALU_DEP_1)
	v_add_f64 v[52:53], v[50:51], v[48:49]
	v_fma_f64 v[54:55], v[52:53], s[16:17], s[14:15]
	v_add_f64 v[50:51], v[52:53], -v[50:51]
	v_mul_f64 v[60:61], v[46:47], v[52:53]
	s_delay_alu instid0(VALU_DEP_3) | instskip(NEXT) | instid1(VALU_DEP_3)
	v_fma_f64 v[54:55], v[52:53], v[54:55], s[18:19]
	v_add_f64 v[48:49], v[48:49], -v[50:51]
	s_delay_alu instid0(VALU_DEP_2) | instskip(NEXT) | instid1(VALU_DEP_1)
	v_fma_f64 v[54:55], v[52:53], v[54:55], s[20:21]
	v_fma_f64 v[54:55], v[52:53], v[54:55], s[22:23]
	s_delay_alu instid0(VALU_DEP_1) | instskip(NEXT) | instid1(VALU_DEP_1)
	v_fma_f64 v[54:55], v[52:53], v[54:55], s[24:25]
	v_fma_f64 v[54:55], v[52:53], v[54:55], s[26:27]
	s_delay_alu instid0(VALU_DEP_1) | instskip(NEXT) | instid1(VALU_DEP_1)
	;; [unrolled: 3-line block ×3, first 2 shown]
	v_mul_f64 v[56:57], v[52:53], v[54:55]
	v_fma_f64 v[50:51], v[52:53], v[54:55], -v[56:57]
	s_delay_alu instid0(VALU_DEP_1) | instskip(NEXT) | instid1(VALU_DEP_1)
	v_fma_f64 v[50:51], v[48:49], v[54:55], v[50:51]
	v_add_f64 v[54:55], v[56:57], v[50:51]
	s_delay_alu instid0(VALU_DEP_1) | instskip(SKIP_1) | instid1(VALU_DEP_2)
	v_add_f64 v[58:59], v[54:55], s[10:11]
	v_add_f64 v[56:57], v[54:55], -v[56:57]
	v_add_f64 v[62:63], v[58:59], s[38:39]
	s_delay_alu instid0(VALU_DEP_2) | instskip(SKIP_1) | instid1(VALU_DEP_3)
	v_add_f64 v[50:51], v[50:51], -v[56:57]
	v_fma_f64 v[56:57], v[52:53], v[46:47], -v[60:61]
	v_add_f64 v[54:55], v[54:55], -v[62:63]
	s_delay_alu instid0(VALU_DEP_3) | instskip(NEXT) | instid1(VALU_DEP_3)
	v_add_f64 v[50:51], v[50:51], s[40:41]
	v_fma_f64 v[52:53], v[52:53], v[44:45], v[56:57]
	v_ldexp_f64 v[44:45], v[44:45], 1
	s_delay_alu instid0(VALU_DEP_3) | instskip(NEXT) | instid1(VALU_DEP_3)
	v_add_f64 v[50:51], v[50:51], v[54:55]
	v_fma_f64 v[48:49], v[48:49], v[46:47], v[52:53]
	v_ldexp_f64 v[46:47], v[46:47], 1
	s_delay_alu instid0(VALU_DEP_3) | instskip(NEXT) | instid1(VALU_DEP_3)
	v_add_f64 v[52:53], v[58:59], v[50:51]
	v_add_f64 v[54:55], v[60:61], v[48:49]
	s_delay_alu instid0(VALU_DEP_2) | instskip(NEXT) | instid1(VALU_DEP_2)
	v_add_f64 v[56:57], v[58:59], -v[52:53]
	v_mul_f64 v[58:59], v[54:55], v[52:53]
	v_add_f64 v[60:61], v[54:55], -v[60:61]
	s_delay_alu instid0(VALU_DEP_3) | instskip(NEXT) | instid1(VALU_DEP_3)
	v_add_f64 v[50:51], v[50:51], v[56:57]
	v_fma_f64 v[56:57], v[54:55], v[52:53], -v[58:59]
	s_delay_alu instid0(VALU_DEP_3) | instskip(NEXT) | instid1(VALU_DEP_2)
	v_add_f64 v[48:49], v[48:49], -v[60:61]
	v_fma_f64 v[50:51], v[54:55], v[50:51], v[56:57]
	s_delay_alu instid0(VALU_DEP_1) | instskip(SKIP_1) | instid1(VALU_DEP_2)
	v_fma_f64 v[48:49], v[48:49], v[52:53], v[50:51]
	v_cvt_f64_i32_e32 v[52:53], v37
	v_add_f64 v[50:51], v[58:59], v[48:49]
	s_delay_alu instid0(VALU_DEP_1) | instskip(SKIP_1) | instid1(VALU_DEP_4)
	v_add_f64 v[54:55], v[46:47], v[50:51]
	v_add_f64 v[56:57], v[50:51], -v[58:59]
	v_mul_f64 v[58:59], v[52:53], s[34:35]
	s_delay_alu instid0(VALU_DEP_3) | instskip(NEXT) | instid1(VALU_DEP_3)
	v_add_f64 v[46:47], v[54:55], -v[46:47]
	v_add_f64 v[48:49], v[48:49], -v[56:57]
	s_delay_alu instid0(VALU_DEP_3) | instskip(NEXT) | instid1(VALU_DEP_3)
	v_fma_f64 v[56:57], v[52:53], s[34:35], -v[58:59]
	v_add_f64 v[46:47], v[50:51], -v[46:47]
	s_delay_alu instid0(VALU_DEP_3) | instskip(NEXT) | instid1(VALU_DEP_3)
	v_add_f64 v[44:45], v[44:45], v[48:49]
	v_fma_f64 v[48:49], v[52:53], s[36:37], v[56:57]
	s_delay_alu instid0(VALU_DEP_2) | instskip(NEXT) | instid1(VALU_DEP_2)
	v_add_f64 v[44:45], v[44:45], v[46:47]
	v_add_f64 v[46:47], v[58:59], v[48:49]
	s_delay_alu instid0(VALU_DEP_2) | instskip(NEXT) | instid1(VALU_DEP_2)
	v_add_f64 v[50:51], v[54:55], v[44:45]
	v_add_f64 v[58:59], v[46:47], -v[58:59]
	s_delay_alu instid0(VALU_DEP_2) | instskip(SKIP_1) | instid1(VALU_DEP_3)
	v_add_f64 v[52:53], v[46:47], v[50:51]
	v_add_f64 v[54:55], v[50:51], -v[54:55]
	v_add_f64 v[48:49], v[48:49], -v[58:59]
	s_delay_alu instid0(VALU_DEP_3) | instskip(NEXT) | instid1(VALU_DEP_3)
	v_add_f64 v[56:57], v[52:53], -v[46:47]
	v_add_f64 v[44:45], v[44:45], -v[54:55]
	s_delay_alu instid0(VALU_DEP_2) | instskip(SKIP_1) | instid1(VALU_DEP_3)
	v_add_f64 v[60:61], v[52:53], -v[56:57]
	v_add_f64 v[50:51], v[50:51], -v[56:57]
	v_add_f64 v[54:55], v[48:49], v[44:45]
	s_delay_alu instid0(VALU_DEP_3) | instskip(NEXT) | instid1(VALU_DEP_1)
	v_add_f64 v[46:47], v[46:47], -v[60:61]
	v_add_f64 v[46:47], v[50:51], v[46:47]
	s_delay_alu instid0(VALU_DEP_3) | instskip(NEXT) | instid1(VALU_DEP_2)
	v_add_f64 v[50:51], v[54:55], -v[48:49]
	v_add_f64 v[46:47], v[54:55], v[46:47]
	s_delay_alu instid0(VALU_DEP_2) | instskip(SKIP_1) | instid1(VALU_DEP_3)
	v_add_f64 v[54:55], v[54:55], -v[50:51]
	v_add_f64 v[44:45], v[44:45], -v[50:51]
	v_add_f64 v[56:57], v[52:53], v[46:47]
	s_delay_alu instid0(VALU_DEP_3) | instskip(NEXT) | instid1(VALU_DEP_2)
	v_add_f64 v[48:49], v[48:49], -v[54:55]
	v_add_f64 v[50:51], v[56:57], -v[52:53]
	s_delay_alu instid0(VALU_DEP_2) | instskip(NEXT) | instid1(VALU_DEP_2)
	v_add_f64 v[44:45], v[44:45], v[48:49]
	v_add_f64 v[46:47], v[46:47], -v[50:51]
	s_delay_alu instid0(VALU_DEP_1) | instskip(NEXT) | instid1(VALU_DEP_1)
	v_add_f64 v[44:45], v[44:45], v[46:47]
	v_add_f64 v[46:47], v[56:57], v[44:45]
	s_delay_alu instid0(VALU_DEP_1) | instskip(SKIP_1) | instid1(VALU_DEP_2)
	v_add_f64 v[48:49], v[46:47], -v[56:57]
	v_mul_f64 v[50:51], v[40:41], v[46:47]
	v_add_f64 v[44:45], v[44:45], -v[48:49]
	s_delay_alu instid0(VALU_DEP_2) | instskip(SKIP_1) | instid1(VALU_DEP_2)
	v_fma_f64 v[46:47], v[40:41], v[46:47], -v[50:51]
	v_cmp_class_f64_e64 s1, v[50:51], 0x204
	v_fma_f64 v[44:45], v[40:41], v[44:45], v[46:47]
	s_delay_alu instid0(VALU_DEP_1) | instskip(NEXT) | instid1(VALU_DEP_1)
	v_add_f64 v[46:47], v[50:51], v[44:45]
	v_cndmask_b32_e64 v49, v47, v51, s1
	s_delay_alu instid0(VALU_DEP_2) | instskip(SKIP_1) | instid1(VALU_DEP_2)
	v_cndmask_b32_e64 v48, v46, v50, s1
	v_add_f64 v[46:47], v[46:47], -v[50:51]
	v_mul_f64 v[52:53], v[48:49], s[42:43]
	v_cmp_lt_f64_e64 s1, 0x40900000, v[48:49]
	v_cmp_neq_f64_e64 s2, 0x7ff00000, |v[48:49]|
	v_cmp_ngt_f64_e64 s3, 0xc090cc00, v[48:49]
	v_add_f64 v[44:45], v[44:45], -v[46:47]
	v_rndne_f64_e32 v[52:53], v[52:53]
	s_delay_alu instid0(VALU_DEP_2) | instskip(NEXT) | instid1(VALU_DEP_3)
	v_cndmask_b32_e64 v45, 0, v45, s2
	v_cndmask_b32_e64 v44, 0, v44, s2
	s_delay_alu instid0(VALU_DEP_3) | instskip(SKIP_1) | instid1(VALU_DEP_2)
	v_fma_f64 v[54:55], v[52:53], s[44:45], v[48:49]
	v_cvt_i32_f64_e32 v37, v[52:53]
	v_fma_f64 v[54:55], v[52:53], s[46:47], v[54:55]
	s_delay_alu instid0(VALU_DEP_1) | instskip(NEXT) | instid1(VALU_DEP_1)
	v_fma_f64 v[56:57], v[54:55], s[50:51], s[48:49]
	v_fma_f64 v[56:57], v[54:55], v[56:57], s[52:53]
	s_delay_alu instid0(VALU_DEP_1) | instskip(NEXT) | instid1(VALU_DEP_1)
	v_fma_f64 v[56:57], v[54:55], v[56:57], s[54:55]
	;; [unrolled: 3-line block ×5, first 2 shown]
	v_fma_f64 v[56:57], v[54:55], v[56:57], 1.0
	s_delay_alu instid0(VALU_DEP_1) | instskip(SKIP_2) | instid1(VALU_DEP_3)
	v_fma_f64 v[52:53], v[54:55], v[56:57], 1.0
	v_trunc_f64_e32 v[54:55], v[40:41]
	v_and_b32_e32 v57, 0x7fffffff, v64
	v_ldexp_f64 v[50:51], v[52:53], v37
	v_mul_f64 v[52:53], v[40:41], 0.5
	s_delay_alu instid0(VALU_DEP_4) | instskip(NEXT) | instid1(VALU_DEP_3)
	v_cmp_eq_f64_e64 s4, v[54:55], v[40:41]
	v_cndmask_b32_e64 v37, v50, 0, s1
	s_delay_alu instid0(VALU_DEP_3) | instskip(SKIP_2) | instid1(VALU_DEP_4)
	v_trunc_f64_e32 v[46:47], v[52:53]
	v_cndmask_b32_e64 v56, v51, 0x7ff00000, s1
	v_and_b32_e32 v51, 0x7fffffff, v51
	v_cndmask_b32_e64 v48, 0, v37, s3
	s_delay_alu instid0(VALU_DEP_3) | instskip(NEXT) | instid1(VALU_DEP_3)
	v_cndmask_b32_e64 v49, 0, v56, s3
	v_cmp_eq_f64_e64 s2, 0x7ff00000, v[50:51]
	s_delay_alu instid0(VALU_DEP_2) | instskip(SKIP_3) | instid1(VALU_DEP_1)
	v_fma_f64 v[44:45], v[48:49], v[44:45], v[48:49]
	v_cmp_neq_f64_e64 s5, v[46:47], v[52:53]
	v_cndmask_b32_e64 v47, v57, 0x3ff00000, s0
	v_mov_b32_e32 v46, v40
	v_cmp_neq_f64_e64 s0, v[40:41], v[46:47]
	s_or_b32 s2, s1, s2
	s_delay_alu instid0(SALU_CYCLE_1) | instskip(SKIP_4) | instid1(VALU_DEP_2)
	s_and_b32 s2, s3, s2
	v_cmp_eq_f64_e64 s3, 0, v[38:39]
	v_cndmask_b32_e64 v45, v45, v49, s2
	v_cndmask_b32_e64 v44, v44, v48, s2
	v_cmp_gt_f64_e64 s2, 0, v[40:41]
	v_cndmask_b32_e64 v50, 0, v44, s4
	s_and_b32 s1, s4, s5
	s_delay_alu instid0(SALU_CYCLE_1) | instskip(SKIP_1) | instid1(VALU_DEP_1)
	v_cndmask_b32_e64 v37, 0x3ff00000, v39, s1
	s_xor_b32 s0, s0, s6
	v_bfi_b32 v37, 0x7fffffff, v45, v37
	v_cndmask_b32_e64 v45, v47, 0, s0
	v_cndmask_b32_e64 v48, v40, 0, s0
	v_cmp_gt_f64_e64 s0, 0, v[38:39]
	s_delay_alu instid0(VALU_DEP_4) | instskip(NEXT) | instid1(VALU_DEP_3)
	v_cndmask_b32_e64 v49, 0x7ff80000, v37, s4
	v_dual_cndmask_b32 v45, v45, v43 :: v_dual_cndmask_b32 v48, v48, v42
	v_cmp_eq_f64_e32 vcc_lo, 0x7ff00000, v[46:47]
	s_xor_b32 s2, s2, s3
	s_delay_alu instid0(VALU_DEP_4) | instskip(SKIP_4) | instid1(VALU_DEP_4)
	v_cndmask_b32_e64 v44, v44, v50, s0
	v_cndmask_b32_e64 v37, v37, v49, s0
	v_cmp_eq_f64_e64 s0, 0x7ff00000, v[42:43]
	v_cndmask_b32_e64 v42, 0x7ff00000, 0, s2
	v_cndmask_b32_e64 v43, 0, v39, s1
	v_dual_cndmask_b32 v44, v44, v48 :: v_dual_cndmask_b32 v37, v37, v45
                                        ; implicit-def: $vgpr45
	s_mov_b32 s1, exec_lo
	s_delay_alu instid0(VALU_DEP_2)
	v_bfi_b32 v42, 0x7fffffff, v42, v43
	s_or_b32 vcc_lo, s0, s3
	s_delay_alu instid0(VALU_DEP_2) | instid1(SALU_CYCLE_1)
	v_cndmask_b32_e64 v43, v44, 0, vcc_lo
	s_delay_alu instid0(VALU_DEP_2) | instskip(SKIP_1) | instid1(VALU_DEP_2)
	v_cndmask_b32_e32 v44, v37, v42, vcc_lo
	v_cmp_u_f64_e32 vcc_lo, v[38:39], v[40:41]
                                        ; implicit-def: $vgpr40_vgpr41
	v_and_b32_e32 v37, 0x7fffffff, v44
	s_delay_alu instid0(VALU_DEP_1) | instskip(SKIP_1) | instid1(VALU_DEP_1)
	v_cndmask_b32_e64 v39, v37, 0x7ff80000, vcc_lo
	v_cndmask_b32_e64 v38, v43, 0, vcc_lo
                                        ; implicit-def: $vgpr42_vgpr43
	v_cmpx_ngt_f64_e32 0x41d00000, v[38:39]
	s_xor_b32 s2, exec_lo, s1
	s_cbranch_execz .LBB1_8
; %bb.7:                                ;   in Loop: Header=BB1_2 Depth=1
	v_ldexp_f64 v[40:41], v[38:39], 0xffffff80
	v_cmp_le_f64_e64 s0, 0x7b000000, v[38:39]
	v_trig_preop_f64 v[42:43], v[38:39], 0
	v_trig_preop_f64 v[45:46], v[38:39], 1
	;; [unrolled: 1-line block ×3, first 2 shown]
	s_mov_b32 s6, s68
	s_mov_b32 s97, s95
	s_delay_alu instid0(VALU_DEP_4) | instskip(SKIP_1) | instid1(VALU_DEP_1)
	v_cndmask_b32_e64 v41, v39, v41, s0
	v_cndmask_b32_e64 v40, v38, v40, s0
	v_mul_f64 v[47:48], v[42:43], v[40:41]
	v_mul_f64 v[49:50], v[45:46], v[40:41]
	;; [unrolled: 1-line block ×3, first 2 shown]
	s_delay_alu instid0(VALU_DEP_3) | instskip(NEXT) | instid1(VALU_DEP_3)
	v_fma_f64 v[42:43], v[42:43], v[40:41], -v[47:48]
	v_fma_f64 v[45:46], v[45:46], v[40:41], -v[49:50]
	s_delay_alu instid0(VALU_DEP_3) | instskip(NEXT) | instid1(VALU_DEP_3)
	v_fma_f64 v[40:41], v[55:56], v[40:41], -v[61:62]
	v_add_f64 v[51:52], v[49:50], v[42:43]
	s_delay_alu instid0(VALU_DEP_1) | instskip(SKIP_1) | instid1(VALU_DEP_2)
	v_add_f64 v[53:54], v[51:52], -v[49:50]
	v_add_f64 v[59:60], v[47:48], v[51:52]
	v_add_f64 v[57:58], v[51:52], -v[53:54]
	v_add_f64 v[42:43], v[42:43], -v[53:54]
	s_delay_alu instid0(VALU_DEP_3) | instskip(SKIP_1) | instid1(VALU_DEP_4)
	v_ldexp_f64 v[53:54], v[59:60], -2
	v_add_f64 v[47:48], v[59:60], -v[47:48]
	v_add_f64 v[49:50], v[49:50], -v[57:58]
	v_add_f64 v[57:58], v[61:62], v[45:46]
	s_delay_alu instid0(VALU_DEP_4) | instskip(NEXT) | instid1(VALU_DEP_4)
	v_cmp_neq_f64_e64 s0, 0x7ff00000, |v[53:54]|
	v_add_f64 v[47:48], v[51:52], -v[47:48]
	s_delay_alu instid0(VALU_DEP_4) | instskip(SKIP_1) | instid1(VALU_DEP_2)
	v_add_f64 v[42:43], v[42:43], v[49:50]
	v_fract_f64_e32 v[49:50], v[53:54]
	v_add_f64 v[51:52], v[57:58], v[42:43]
	s_delay_alu instid0(VALU_DEP_2) | instskip(NEXT) | instid1(VALU_DEP_3)
	v_cndmask_b32_e64 v50, 0, v50, s0
	v_cndmask_b32_e64 v49, 0, v49, s0
	s_delay_alu instid0(VALU_DEP_1) | instskip(NEXT) | instid1(VALU_DEP_4)
	v_ldexp_f64 v[49:50], v[49:50], 2
	v_add_f64 v[53:54], v[47:48], v[51:52]
	v_add_f64 v[63:64], v[51:52], -v[57:58]
	s_delay_alu instid0(VALU_DEP_2) | instskip(NEXT) | instid1(VALU_DEP_2)
	v_add_f64 v[59:60], v[53:54], v[49:50]
	v_add_f64 v[69:70], v[51:52], -v[63:64]
	v_add_f64 v[42:43], v[42:43], -v[63:64]
	;; [unrolled: 1-line block ×3, first 2 shown]
	s_delay_alu instid0(VALU_DEP_4) | instskip(SKIP_1) | instid1(VALU_DEP_2)
	v_cmp_gt_f64_e64 s0, 0, v[59:60]
	v_add_f64 v[59:60], v[57:58], -v[61:62]
	v_cndmask_b32_e64 v37, 0, 0x40100000, s0
	s_delay_alu instid0(VALU_DEP_2) | instskip(SKIP_2) | instid1(VALU_DEP_4)
	v_add_f64 v[67:68], v[57:58], -v[59:60]
	v_add_f64 v[45:46], v[45:46], -v[59:60]
	v_add_f64 v[57:58], v[57:58], -v[69:70]
	v_add_f64 v[49:50], v[49:50], v[36:37]
	s_delay_alu instid0(VALU_DEP_4) | instskip(NEXT) | instid1(VALU_DEP_3)
	v_add_f64 v[59:60], v[61:62], -v[67:68]
	v_add_f64 v[42:43], v[42:43], v[57:58]
	s_delay_alu instid0(VALU_DEP_3) | instskip(NEXT) | instid1(VALU_DEP_3)
	v_add_f64 v[65:66], v[53:54], v[49:50]
	v_add_f64 v[45:46], v[45:46], v[59:60]
	s_delay_alu instid0(VALU_DEP_2) | instskip(NEXT) | instid1(VALU_DEP_2)
	v_cvt_i32_f64_e32 v37, v[65:66]
	v_add_f64 v[42:43], v[45:46], v[42:43]
	v_add_f64 v[45:46], v[51:52], -v[47:48]
	s_delay_alu instid0(VALU_DEP_3) | instskip(NEXT) | instid1(VALU_DEP_3)
	v_cvt_f64_i32_e32 v[63:64], v37
	v_add_f64 v[40:41], v[40:41], v[42:43]
	s_delay_alu instid0(VALU_DEP_2) | instskip(NEXT) | instid1(VALU_DEP_2)
	v_add_f64 v[49:50], v[49:50], -v[63:64]
	v_add_f64 v[40:41], v[45:46], v[40:41]
	s_delay_alu instid0(VALU_DEP_2) | instskip(NEXT) | instid1(VALU_DEP_1)
	v_add_f64 v[55:56], v[53:54], v[49:50]
	v_add_f64 v[42:43], v[55:56], -v[49:50]
	v_cmp_le_f64_e64 s0, 0.5, v[55:56]
	s_delay_alu instid0(VALU_DEP_2) | instskip(NEXT) | instid1(VALU_DEP_2)
	v_add_f64 v[42:43], v[53:54], -v[42:43]
	v_add_co_ci_u32_e64 v45, s1, 0, v37, s0
	v_cndmask_b32_e64 v37, 0, 0x3ff00000, s0
	s_delay_alu instid0(VALU_DEP_3) | instskip(NEXT) | instid1(VALU_DEP_2)
	v_add_f64 v[40:41], v[40:41], v[42:43]
	v_add_f64 v[42:43], v[55:56], -v[36:37]
	s_delay_alu instid0(VALU_DEP_1) | instskip(NEXT) | instid1(VALU_DEP_1)
	v_add_f64 v[46:47], v[42:43], v[40:41]
	v_mul_f64 v[48:49], v[46:47], s[6:7]
	v_add_f64 v[42:43], v[46:47], -v[42:43]
	s_delay_alu instid0(VALU_DEP_2) | instskip(NEXT) | instid1(VALU_DEP_2)
	v_fma_f64 v[50:51], v[46:47], s[6:7], -v[48:49]
	v_add_f64 v[40:41], v[40:41], -v[42:43]
	s_delay_alu instid0(VALU_DEP_2) | instskip(NEXT) | instid1(VALU_DEP_1)
	v_fma_f64 v[42:43], v[46:47], s[96:97], v[50:51]
	v_fma_f64 v[42:43], v[40:41], s[6:7], v[42:43]
	s_delay_alu instid0(VALU_DEP_1) | instskip(NEXT) | instid1(VALU_DEP_1)
	v_add_f64 v[40:41], v[48:49], v[42:43]
	v_add_f64 v[46:47], v[40:41], -v[48:49]
	s_delay_alu instid0(VALU_DEP_1)
	v_add_f64 v[42:43], v[42:43], -v[46:47]
.LBB1_8:                                ;   in Loop: Header=BB1_2 Depth=1
	s_and_not1_saveexec_b32 s0, s2
	s_cbranch_execz .LBB1_1
; %bb.9:                                ;   in Loop: Header=BB1_2 Depth=1
	v_mul_f64 v[40:41], v[38:39], s[70:71]
	s_mov_b32 s94, s72
	s_delay_alu instid0(VALU_DEP_1) | instskip(NEXT) | instid1(VALU_DEP_1)
	v_rndne_f64_e32 v[45:46], v[40:41]
	v_fma_f64 v[40:41], v[45:46], s[68:69], v[38:39]
	v_mul_f64 v[42:43], v[45:46], s[72:73]
	s_delay_alu instid0(VALU_DEP_2) | instskip(NEXT) | instid1(VALU_DEP_2)
	v_fma_f64 v[49:50], v[45:46], s[72:73], v[40:41]
	v_add_f64 v[47:48], v[40:41], v[42:43]
	s_delay_alu instid0(VALU_DEP_1) | instskip(NEXT) | instid1(VALU_DEP_3)
	v_add_f64 v[40:41], v[40:41], -v[47:48]
	v_add_f64 v[47:48], v[47:48], -v[49:50]
	s_delay_alu instid0(VALU_DEP_2) | instskip(SKIP_1) | instid1(VALU_DEP_2)
	v_add_f64 v[40:41], v[40:41], v[42:43]
	v_fma_f64 v[42:43], v[45:46], s[94:95], v[42:43]
	v_add_f64 v[40:41], v[47:48], v[40:41]
	s_delay_alu instid0(VALU_DEP_1) | instskip(NEXT) | instid1(VALU_DEP_1)
	v_add_f64 v[40:41], v[40:41], -v[42:43]
	v_fma_f64 v[42:43], v[45:46], s[74:75], v[40:41]
	v_cvt_i32_f64_e32 v45, v[45:46]
	s_delay_alu instid0(VALU_DEP_2) | instskip(NEXT) | instid1(VALU_DEP_1)
	v_add_f64 v[40:41], v[49:50], v[42:43]
	v_add_f64 v[47:48], v[40:41], -v[49:50]
	s_delay_alu instid0(VALU_DEP_1)
	v_add_f64 v[42:43], v[42:43], -v[47:48]
	s_branch .LBB1_1
.LBB1_10:
	v_cvt_f64_i32_e32 v[0:1], s33
	s_mov_b32 s0, exec_lo
	s_delay_alu instid0(VALU_DEP_1)
	v_cmpx_eq_f64_e32 v[32:33], v[0:1]
	s_cbranch_execz .LBB1_12
; %bb.11:
	global_store_b64 v[34:35], v[32:33], off
.LBB1_12:
	s_nop 0
	s_sendmsg sendmsg(MSG_DEALLOC_VGPRS)
	s_endpgm
	.section	.rodata,"a",@progbits
	.p2align	6, 0x0
	.amdhsa_kernel _Z9vgprboundiPd
		.amdhsa_group_segment_fixed_size 0
		.amdhsa_private_segment_fixed_size 0
		.amdhsa_kernarg_size 16
		.amdhsa_user_sgpr_count 15
		.amdhsa_user_sgpr_dispatch_ptr 0
		.amdhsa_user_sgpr_queue_ptr 0
		.amdhsa_user_sgpr_kernarg_segment_ptr 1
		.amdhsa_user_sgpr_dispatch_id 0
		.amdhsa_user_sgpr_private_segment_size 0
		.amdhsa_wavefront_size32 1
		.amdhsa_uses_dynamic_stack 0
		.amdhsa_enable_private_segment 0
		.amdhsa_system_sgpr_workgroup_id_x 1
		.amdhsa_system_sgpr_workgroup_id_y 0
		.amdhsa_system_sgpr_workgroup_id_z 0
		.amdhsa_system_sgpr_workgroup_info 0
		.amdhsa_system_vgpr_workitem_id 0
		.amdhsa_next_free_vgpr 71
		.amdhsa_next_free_sgpr 102
		.amdhsa_reserve_vcc 1
		.amdhsa_float_round_mode_32 0
		.amdhsa_float_round_mode_16_64 0
		.amdhsa_float_denorm_mode_32 3
		.amdhsa_float_denorm_mode_16_64 3
		.amdhsa_dx10_clamp 1
		.amdhsa_ieee_mode 1
		.amdhsa_fp16_overflow 0
		.amdhsa_workgroup_processor_mode 1
		.amdhsa_memory_ordered 1
		.amdhsa_forward_progress 0
		.amdhsa_shared_vgpr_count 0
		.amdhsa_exception_fp_ieee_invalid_op 0
		.amdhsa_exception_fp_denorm_src 0
		.amdhsa_exception_fp_ieee_div_zero 0
		.amdhsa_exception_fp_ieee_overflow 0
		.amdhsa_exception_fp_ieee_underflow 0
		.amdhsa_exception_fp_ieee_inexact 0
		.amdhsa_exception_int_div_zero 0
	.end_amdhsa_kernel
	.text
.Lfunc_end1:
	.size	_Z9vgprboundiPd, .Lfunc_end1-_Z9vgprboundiPd
                                        ; -- End function
	.section	.AMDGPU.csdata,"",@progbits
; Kernel info:
; codeLenInByte = 4316
; NumSgprs: 104
; NumVgprs: 71
; ScratchSize: 0
; MemoryBound: 0
; FloatMode: 240
; IeeeMode: 1
; LDSByteSize: 0 bytes/workgroup (compile time only)
; SGPRBlocks: 12
; VGPRBlocks: 8
; NumSGPRsForWavesPerEU: 104
; NumVGPRsForWavesPerEU: 71
; Occupancy: 16
; WaveLimiterHint : 0
; COMPUTE_PGM_RSRC2:SCRATCH_EN: 0
; COMPUTE_PGM_RSRC2:USER_SGPR: 15
; COMPUTE_PGM_RSRC2:TRAP_HANDLER: 0
; COMPUTE_PGM_RSRC2:TGID_X_EN: 1
; COMPUTE_PGM_RSRC2:TGID_Y_EN: 0
; COMPUTE_PGM_RSRC2:TGID_Z_EN: 0
; COMPUTE_PGM_RSRC2:TIDIG_COMP_CNT: 0
	.text
	.protected	_Z8ldsboundiPd          ; -- Begin function _Z8ldsboundiPd
	.globl	_Z8ldsboundiPd
	.p2align	8
	.type	_Z8ldsboundiPd,@function
_Z8ldsboundiPd:                         ; @_Z8ldsboundiPd
; %bb.0:
	s_clause 0x1
	s_load_b32 s33, s[0:1], 0x0
	s_load_b32 s2, s[0:1], 0x1c
	v_dual_mov_b32 v4, v0 :: v_dual_lshlrev_b32 v13, 3, v0
	s_delay_alu instid0(VALU_DEP_1)
	v_mov_b32_e32 v3, v13
	s_waitcnt lgkmcnt(0)
	v_mul_lo_u32 v1, v0, s33
	s_and_b32 s100, s2, 0xffff
	s_mov_b32 s2, 0
	s_lshl_b32 s101, s100, 3
	s_delay_alu instid0(VALU_DEP_1)
	v_cvt_f64_u32_e32 v[1:2], v1
.LBB2_1:                                ; =>This Inner Loop Header: Depth=1
	v_add_nc_u32_e32 v4, s100, v4
	ds_store_b64 v3, v[1:2]
	v_add_nc_u32_e32 v3, s101, v3
	v_cmp_lt_u32_e32 vcc_lo, 0x1fff, v4
	s_or_b32 s2, vcc_lo, s2
	s_delay_alu instid0(SALU_CYCLE_1)
	s_and_not1_b32 exec_lo, exec_lo, s2
	s_cbranch_execnz .LBB2_1
; %bb.2:
	s_or_b32 exec_lo, exec_lo, s2
	s_load_b64 s[0:1], s[0:1], 0x8
	v_lshlrev_b32_e32 v3, 3, v0
	s_waitcnt lgkmcnt(0)
	s_barrier
	buffer_gl0_inv
	s_mov_b32 s10, 0x55555555
	s_mov_b32 s58, 0x11110bb3
	v_mov_b32_e32 v5, 0
	s_mov_b32 s11, 0x3fa55555
	s_mov_b32 s59, 0x3f811111
	;; [unrolled: 1-line block ×12, first 2 shown]
	global_load_b64 v[1:2], v3, s[0:1]
	v_add_co_u32 v3, s0, s0, v3
	s_delay_alu instid0(VALU_DEP_1)
	v_add_co_ci_u32_e64 v4, null, s1, 0, s0
	s_mov_b32 s30, 0xfefa39ef
	s_mov_b32 s34, 0x3b39803f
	;; [unrolled: 1-line block ×75, first 2 shown]
	s_branch .LBB2_4
.LBB2_3:                                ;   in Loop: Header=BB2_4 Depth=1
	s_or_b32 exec_lo, exec_lo, s0
	v_mul_f64 v[16:17], v[9:10], v[9:10]
	s_delay_alu instid0(VALU_DEP_2)
	v_mul_f64 v[26:27], v[11:12], 0.5
	s_mov_b32 s98, s10
	v_cmp_lg_f64_e64 s1, 0x7ff00000, v[7:8]
	v_and_b32_e32 v6, 1, v15
	v_cndmask_b32_e64 v7, v14, 0x7ff80000, vcc_lo
	v_lshlrev_b32_e32 v8, 30, v15
	v_add_nc_u32_e32 v0, s100, v0
	s_delay_alu instid0(VALU_DEP_4) | instskip(SKIP_1) | instid1(VALU_DEP_3)
	v_cmp_eq_u32_e64 s0, 0, v6
	s_barrier
	v_xor_b32_e32 v7, v8, v7
	s_delay_alu instid0(VALU_DEP_3)
	v_cmp_lt_u32_e32 vcc_lo, 0x1fff, v0
	buffer_gl0_inv
	v_and_b32_e32 v7, 0x80000000, v7
	s_or_b32 s102, vcc_lo, s102
	v_fma_f64 v[18:19], v[16:17], s[88:89], s[86:87]
	v_fma_f64 v[20:21], v[16:17], s[78:79], s[76:77]
	v_mul_f64 v[22:23], v[16:17], 0.5
	v_mul_f64 v[28:29], v[9:10], -v[16:17]
	s_delay_alu instid0(VALU_DEP_4) | instskip(NEXT) | instid1(VALU_DEP_4)
	v_fma_f64 v[18:19], v[16:17], v[18:19], s[90:91]
	v_fma_f64 v[20:21], v[16:17], v[20:21], s[80:81]
	s_delay_alu instid0(VALU_DEP_4) | instskip(NEXT) | instid1(VALU_DEP_3)
	v_add_f64 v[24:25], -v[22:23], 1.0
	v_fma_f64 v[18:19], v[16:17], v[18:19], s[92:93]
	s_delay_alu instid0(VALU_DEP_3) | instskip(NEXT) | instid1(VALU_DEP_3)
	v_fma_f64 v[20:21], v[16:17], v[20:21], s[82:83]
	v_add_f64 v[30:31], -v[24:25], 1.0
	s_delay_alu instid0(VALU_DEP_3) | instskip(NEXT) | instid1(VALU_DEP_3)
	v_fma_f64 v[18:19], v[16:17], v[18:19], s[58:59]
	v_fma_f64 v[20:21], v[16:17], v[20:21], s[84:85]
	s_delay_alu instid0(VALU_DEP_3) | instskip(NEXT) | instid1(VALU_DEP_3)
	v_add_f64 v[22:23], v[30:31], -v[22:23]
	v_fma_f64 v[18:19], v[28:29], v[18:19], v[26:27]
	v_mul_f64 v[26:27], v[16:17], v[16:17]
	s_delay_alu instid0(VALU_DEP_4) | instskip(NEXT) | instid1(VALU_DEP_4)
	v_fma_f64 v[20:21], v[16:17], v[20:21], s[10:11]
	v_fma_f64 v[22:23], v[9:10], -v[11:12], v[22:23]
	s_delay_alu instid0(VALU_DEP_4) | instskip(NEXT) | instid1(VALU_DEP_2)
	v_fma_f64 v[11:12], v[16:17], v[18:19], -v[11:12]
	v_fma_f64 v[16:17], v[26:27], v[20:21], v[22:23]
	s_delay_alu instid0(VALU_DEP_2) | instskip(NEXT) | instid1(VALU_DEP_2)
	v_fma_f64 v[11:12], v[28:29], s[98:99], v[11:12]
	v_add_f64 v[16:17], v[24:25], v[16:17]
	s_delay_alu instid0(VALU_DEP_2) | instskip(NEXT) | instid1(VALU_DEP_1)
	v_add_f64 v[9:10], v[9:10], -v[11:12]
	v_cndmask_b32_e64 v8, v17, v10, s0
	s_delay_alu instid0(VALU_DEP_2) | instskip(NEXT) | instid1(VALU_DEP_2)
	v_cndmask_b32_e64 v6, v16, v9, s0
	v_xor_b32_e32 v7, v8, v7
	s_delay_alu instid0(VALU_DEP_2) | instskip(NEXT) | instid1(VALU_DEP_2)
	v_cndmask_b32_e64 v6, 0, v6, s1
	v_cndmask_b32_e64 v7, 0x7ff80000, v7, s1
	s_delay_alu instid0(VALU_DEP_1)
	v_add_f64 v[1:2], v[1:2], v[6:7]
	ds_store_b64 v13, v[1:2]
	v_add_nc_u32_e32 v13, s101, v13
	s_and_not1_b32 exec_lo, exec_lo, s102
	s_cbranch_execz .LBB2_8
.LBB2_4:                                ; =>This Inner Loop Header: Depth=1
	v_add_nc_u32_e32 v6, -1, v0
	v_lshlrev_b32_e32 v7, 2, v0
	s_delay_alu instid0(VALU_DEP_2) | instskip(NEXT) | instid1(VALU_DEP_2)
	v_and_b32_e32 v6, 0x1fff, v6
	v_and_b32_e32 v7, 0x7c, v7
	s_delay_alu instid0(VALU_DEP_2)
	v_lshlrev_b32_e32 v8, 3, v6
	s_waitcnt vmcnt(0)
	ds_bpermute_b32 v6, v7, v1
	ds_bpermute_b32 v7, v7, v2
	ds_load_b64 v[8:9], v8
	s_waitcnt lgkmcnt(0)
	v_mul_f64 v[7:8], v[8:9], v[6:7]
	ds_load_b64 v[9:10], v13
	v_cmp_eq_f64_e64 s0, 1.0, v[7:8]
	v_and_b32_e32 v6, 0x7fffffff, v8
	s_waitcnt lgkmcnt(0)
	s_delay_alu instid0(VALU_DEP_2) | instskip(SKIP_3) | instid1(VALU_DEP_3)
	v_cndmask_b32_e64 v12, v10, 0x3ff00000, s0
	v_cndmask_b32_e64 v11, v9, 0, s0
	v_and_b32_e32 v10, 0x7fffffff, v10
	v_cndmask_b32_e64 v9, v9, 0, s0
	v_cmp_eq_f64_e32 vcc_lo, 0, v[11:12]
	s_delay_alu instid0(VALU_DEP_3) | instskip(NEXT) | instid1(VALU_DEP_1)
	v_cndmask_b32_e64 v10, v10, 0x3ff00000, s0
	v_cmp_neq_f64_e64 s0, v[11:12], v[9:10]
	v_cndmask_b32_e64 v15, v6, 0x3ff00000, vcc_lo
	v_cndmask_b32_e64 v14, v7, 0, vcc_lo
	v_cndmask_b32_e64 v8, v8, 0x3ff00000, vcc_lo
	v_cndmask_b32_e64 v7, v7, 0, vcc_lo
	s_delay_alu instid0(VALU_DEP_3) | instskip(SKIP_2) | instid1(VALU_DEP_3)
	v_frexp_mant_f64_e32 v[16:17], v[14:15]
	v_cmp_gt_f64_e64 s6, 1.0, v[14:15]
	v_cmp_eq_f64_e32 vcc_lo, 1.0, v[14:15]
	v_cmp_gt_f64_e64 s1, s[8:9], v[16:17]
	s_delay_alu instid0(VALU_DEP_3) | instskip(NEXT) | instid1(VALU_DEP_1)
	s_xor_b32 s0, s0, s6
	v_cndmask_b32_e64 v6, 0x3ff00000, 2.0, s1
	s_delay_alu instid0(VALU_DEP_1) | instskip(SKIP_1) | instid1(VALU_DEP_2)
	v_mul_f64 v[16:17], v[16:17], v[5:6]
	v_frexp_exp_i32_f64_e32 v6, v[14:15]
	v_add_f64 v[18:19], v[16:17], 1.0
	v_add_f64 v[24:25], v[16:17], -1.0
	s_delay_alu instid0(VALU_DEP_3) | instskip(NEXT) | instid1(VALU_DEP_3)
	v_subrev_co_ci_u32_e64 v6, s1, 0, v6, s1
	v_rcp_f64_e32 v[20:21], v[18:19]
	v_add_f64 v[26:27], v[18:19], -1.0
	s_delay_alu instid0(VALU_DEP_1) | instskip(SKIP_2) | instid1(VALU_DEP_1)
	v_add_f64 v[16:17], v[16:17], -v[26:27]
	s_waitcnt_depctr 0xfff
	v_fma_f64 v[22:23], -v[18:19], v[20:21], 1.0
	v_fma_f64 v[20:21], v[22:23], v[20:21], v[20:21]
	s_delay_alu instid0(VALU_DEP_1) | instskip(NEXT) | instid1(VALU_DEP_1)
	v_fma_f64 v[22:23], -v[18:19], v[20:21], 1.0
	v_fma_f64 v[20:21], v[22:23], v[20:21], v[20:21]
	s_delay_alu instid0(VALU_DEP_1) | instskip(NEXT) | instid1(VALU_DEP_1)
	v_mul_f64 v[22:23], v[24:25], v[20:21]
	v_mul_f64 v[28:29], v[18:19], v[22:23]
	s_delay_alu instid0(VALU_DEP_1) | instskip(NEXT) | instid1(VALU_DEP_1)
	v_fma_f64 v[18:19], v[22:23], v[18:19], -v[28:29]
	v_fma_f64 v[16:17], v[22:23], v[16:17], v[18:19]
	s_delay_alu instid0(VALU_DEP_1) | instskip(NEXT) | instid1(VALU_DEP_1)
	v_add_f64 v[18:19], v[28:29], v[16:17]
	v_add_f64 v[26:27], v[24:25], -v[18:19]
	v_add_f64 v[28:29], v[18:19], -v[28:29]
	s_delay_alu instid0(VALU_DEP_2) | instskip(NEXT) | instid1(VALU_DEP_2)
	v_add_f64 v[24:25], v[24:25], -v[26:27]
	v_add_f64 v[16:17], v[28:29], -v[16:17]
	s_delay_alu instid0(VALU_DEP_2) | instskip(NEXT) | instid1(VALU_DEP_1)
	v_add_f64 v[18:19], v[24:25], -v[18:19]
	v_add_f64 v[16:17], v[16:17], v[18:19]
	s_delay_alu instid0(VALU_DEP_1) | instskip(NEXT) | instid1(VALU_DEP_1)
	v_add_f64 v[16:17], v[26:27], v[16:17]
	v_mul_f64 v[16:17], v[20:21], v[16:17]
	s_delay_alu instid0(VALU_DEP_1) | instskip(NEXT) | instid1(VALU_DEP_1)
	v_add_f64 v[18:19], v[22:23], v[16:17]
	v_add_f64 v[20:21], v[18:19], -v[22:23]
	v_mul_f64 v[22:23], v[18:19], v[18:19]
	s_delay_alu instid0(VALU_DEP_2) | instskip(NEXT) | instid1(VALU_DEP_2)
	v_add_f64 v[16:17], v[16:17], -v[20:21]
	v_fma_f64 v[20:21], v[18:19], v[18:19], -v[22:23]
	s_delay_alu instid0(VALU_DEP_2) | instskip(NEXT) | instid1(VALU_DEP_1)
	v_add_f64 v[24:25], v[16:17], v[16:17]
	v_fma_f64 v[20:21], v[18:19], v[24:25], v[20:21]
	s_delay_alu instid0(VALU_DEP_1) | instskip(NEXT) | instid1(VALU_DEP_1)
	v_add_f64 v[24:25], v[22:23], v[20:21]
	v_fma_f64 v[26:27], v[24:25], s[14:15], s[12:13]
	v_add_f64 v[22:23], v[24:25], -v[22:23]
	v_mul_f64 v[32:33], v[18:19], v[24:25]
	s_delay_alu instid0(VALU_DEP_3) | instskip(NEXT) | instid1(VALU_DEP_3)
	v_fma_f64 v[26:27], v[24:25], v[26:27], s[16:17]
	v_add_f64 v[20:21], v[20:21], -v[22:23]
	s_delay_alu instid0(VALU_DEP_2) | instskip(NEXT) | instid1(VALU_DEP_1)
	v_fma_f64 v[26:27], v[24:25], v[26:27], s[18:19]
	v_fma_f64 v[26:27], v[24:25], v[26:27], s[20:21]
	s_delay_alu instid0(VALU_DEP_1) | instskip(NEXT) | instid1(VALU_DEP_1)
	v_fma_f64 v[26:27], v[24:25], v[26:27], s[22:23]
	v_fma_f64 v[26:27], v[24:25], v[26:27], s[24:25]
	s_delay_alu instid0(VALU_DEP_1) | instskip(NEXT) | instid1(VALU_DEP_1)
	;; [unrolled: 3-line block ×3, first 2 shown]
	v_mul_f64 v[28:29], v[24:25], v[26:27]
	v_fma_f64 v[22:23], v[24:25], v[26:27], -v[28:29]
	s_delay_alu instid0(VALU_DEP_1) | instskip(NEXT) | instid1(VALU_DEP_1)
	v_fma_f64 v[22:23], v[20:21], v[26:27], v[22:23]
	v_add_f64 v[26:27], v[28:29], v[22:23]
	s_delay_alu instid0(VALU_DEP_1) | instskip(SKIP_1) | instid1(VALU_DEP_2)
	v_add_f64 v[30:31], v[26:27], s[8:9]
	v_add_f64 v[28:29], v[26:27], -v[28:29]
	v_add_f64 v[34:35], v[30:31], s[36:37]
	s_delay_alu instid0(VALU_DEP_2) | instskip(SKIP_1) | instid1(VALU_DEP_3)
	v_add_f64 v[22:23], v[22:23], -v[28:29]
	v_fma_f64 v[28:29], v[24:25], v[18:19], -v[32:33]
	v_add_f64 v[26:27], v[26:27], -v[34:35]
	s_delay_alu instid0(VALU_DEP_3) | instskip(NEXT) | instid1(VALU_DEP_3)
	v_add_f64 v[22:23], v[22:23], s[38:39]
	v_fma_f64 v[24:25], v[24:25], v[16:17], v[28:29]
	v_ldexp_f64 v[16:17], v[16:17], 1
	s_delay_alu instid0(VALU_DEP_3) | instskip(NEXT) | instid1(VALU_DEP_3)
	v_add_f64 v[22:23], v[22:23], v[26:27]
	v_fma_f64 v[20:21], v[20:21], v[18:19], v[24:25]
	v_ldexp_f64 v[18:19], v[18:19], 1
	s_delay_alu instid0(VALU_DEP_3) | instskip(NEXT) | instid1(VALU_DEP_3)
	v_add_f64 v[24:25], v[30:31], v[22:23]
	v_add_f64 v[26:27], v[32:33], v[20:21]
	s_delay_alu instid0(VALU_DEP_2) | instskip(NEXT) | instid1(VALU_DEP_2)
	v_add_f64 v[28:29], v[30:31], -v[24:25]
	v_mul_f64 v[30:31], v[26:27], v[24:25]
	v_add_f64 v[32:33], v[26:27], -v[32:33]
	s_delay_alu instid0(VALU_DEP_3) | instskip(NEXT) | instid1(VALU_DEP_3)
	v_add_f64 v[22:23], v[22:23], v[28:29]
	v_fma_f64 v[28:29], v[26:27], v[24:25], -v[30:31]
	s_delay_alu instid0(VALU_DEP_3) | instskip(NEXT) | instid1(VALU_DEP_2)
	v_add_f64 v[20:21], v[20:21], -v[32:33]
	v_fma_f64 v[22:23], v[26:27], v[22:23], v[28:29]
	s_delay_alu instid0(VALU_DEP_1) | instskip(SKIP_1) | instid1(VALU_DEP_2)
	v_fma_f64 v[20:21], v[20:21], v[24:25], v[22:23]
	v_cvt_f64_i32_e32 v[24:25], v6
	v_add_f64 v[22:23], v[30:31], v[20:21]
	s_delay_alu instid0(VALU_DEP_1) | instskip(SKIP_1) | instid1(VALU_DEP_4)
	v_add_f64 v[26:27], v[18:19], v[22:23]
	v_add_f64 v[28:29], v[22:23], -v[30:31]
	v_mul_f64 v[30:31], v[24:25], s[30:31]
	s_delay_alu instid0(VALU_DEP_3) | instskip(NEXT) | instid1(VALU_DEP_3)
	v_add_f64 v[18:19], v[26:27], -v[18:19]
	v_add_f64 v[20:21], v[20:21], -v[28:29]
	s_delay_alu instid0(VALU_DEP_3) | instskip(NEXT) | instid1(VALU_DEP_3)
	v_fma_f64 v[28:29], v[24:25], s[30:31], -v[30:31]
	v_add_f64 v[18:19], v[22:23], -v[18:19]
	s_delay_alu instid0(VALU_DEP_3) | instskip(NEXT) | instid1(VALU_DEP_3)
	v_add_f64 v[16:17], v[16:17], v[20:21]
	v_fma_f64 v[20:21], v[24:25], s[34:35], v[28:29]
	s_delay_alu instid0(VALU_DEP_2) | instskip(NEXT) | instid1(VALU_DEP_2)
	v_add_f64 v[16:17], v[16:17], v[18:19]
	v_add_f64 v[18:19], v[30:31], v[20:21]
	s_delay_alu instid0(VALU_DEP_2) | instskip(NEXT) | instid1(VALU_DEP_2)
	v_add_f64 v[22:23], v[26:27], v[16:17]
	v_add_f64 v[30:31], v[18:19], -v[30:31]
	s_delay_alu instid0(VALU_DEP_2) | instskip(SKIP_1) | instid1(VALU_DEP_3)
	v_add_f64 v[24:25], v[18:19], v[22:23]
	v_add_f64 v[26:27], v[22:23], -v[26:27]
	v_add_f64 v[20:21], v[20:21], -v[30:31]
	s_delay_alu instid0(VALU_DEP_3) | instskip(NEXT) | instid1(VALU_DEP_3)
	v_add_f64 v[28:29], v[24:25], -v[18:19]
	v_add_f64 v[16:17], v[16:17], -v[26:27]
	s_delay_alu instid0(VALU_DEP_2) | instskip(SKIP_1) | instid1(VALU_DEP_3)
	v_add_f64 v[32:33], v[24:25], -v[28:29]
	v_add_f64 v[22:23], v[22:23], -v[28:29]
	v_add_f64 v[26:27], v[20:21], v[16:17]
	s_delay_alu instid0(VALU_DEP_3) | instskip(NEXT) | instid1(VALU_DEP_1)
	v_add_f64 v[18:19], v[18:19], -v[32:33]
	v_add_f64 v[18:19], v[22:23], v[18:19]
	s_delay_alu instid0(VALU_DEP_3) | instskip(NEXT) | instid1(VALU_DEP_2)
	v_add_f64 v[22:23], v[26:27], -v[20:21]
	v_add_f64 v[18:19], v[26:27], v[18:19]
	s_delay_alu instid0(VALU_DEP_2) | instskip(SKIP_1) | instid1(VALU_DEP_3)
	v_add_f64 v[26:27], v[26:27], -v[22:23]
	v_add_f64 v[16:17], v[16:17], -v[22:23]
	v_add_f64 v[28:29], v[24:25], v[18:19]
	s_delay_alu instid0(VALU_DEP_3) | instskip(NEXT) | instid1(VALU_DEP_2)
	v_add_f64 v[20:21], v[20:21], -v[26:27]
	v_add_f64 v[22:23], v[28:29], -v[24:25]
	s_delay_alu instid0(VALU_DEP_2) | instskip(NEXT) | instid1(VALU_DEP_2)
	v_add_f64 v[16:17], v[16:17], v[20:21]
	v_add_f64 v[18:19], v[18:19], -v[22:23]
	s_delay_alu instid0(VALU_DEP_1) | instskip(NEXT) | instid1(VALU_DEP_1)
	v_add_f64 v[16:17], v[16:17], v[18:19]
	v_add_f64 v[18:19], v[28:29], v[16:17]
	s_delay_alu instid0(VALU_DEP_1) | instskip(SKIP_1) | instid1(VALU_DEP_2)
	v_add_f64 v[20:21], v[18:19], -v[28:29]
	v_mul_f64 v[22:23], v[11:12], v[18:19]
	v_add_f64 v[16:17], v[16:17], -v[20:21]
	s_delay_alu instid0(VALU_DEP_2) | instskip(SKIP_1) | instid1(VALU_DEP_2)
	v_fma_f64 v[18:19], v[11:12], v[18:19], -v[22:23]
	v_cmp_class_f64_e64 s1, v[22:23], 0x204
	v_fma_f64 v[16:17], v[11:12], v[16:17], v[18:19]
	s_delay_alu instid0(VALU_DEP_1) | instskip(NEXT) | instid1(VALU_DEP_1)
	v_add_f64 v[18:19], v[22:23], v[16:17]
	v_cndmask_b32_e64 v21, v19, v23, s1
	s_delay_alu instid0(VALU_DEP_2) | instskip(SKIP_1) | instid1(VALU_DEP_2)
	v_cndmask_b32_e64 v20, v18, v22, s1
	v_add_f64 v[18:19], v[18:19], -v[22:23]
	v_mul_f64 v[24:25], v[20:21], s[40:41]
	v_cmp_lt_f64_e64 s1, 0x40900000, v[20:21]
	v_cmp_neq_f64_e64 s2, 0x7ff00000, |v[20:21]|
	v_cmp_ngt_f64_e64 s3, 0xc090cc00, v[20:21]
	v_add_f64 v[16:17], v[16:17], -v[18:19]
	v_rndne_f64_e32 v[24:25], v[24:25]
	s_delay_alu instid0(VALU_DEP_2) | instskip(NEXT) | instid1(VALU_DEP_3)
	v_cndmask_b32_e64 v17, 0, v17, s2
	v_cndmask_b32_e64 v16, 0, v16, s2
	s_delay_alu instid0(VALU_DEP_3) | instskip(SKIP_1) | instid1(VALU_DEP_2)
	v_fma_f64 v[26:27], v[24:25], s[42:43], v[20:21]
	v_cvt_i32_f64_e32 v6, v[24:25]
	v_fma_f64 v[26:27], v[24:25], s[44:45], v[26:27]
	s_delay_alu instid0(VALU_DEP_1) | instskip(NEXT) | instid1(VALU_DEP_1)
	v_fma_f64 v[28:29], v[26:27], s[48:49], s[46:47]
	v_fma_f64 v[28:29], v[26:27], v[28:29], s[50:51]
	s_delay_alu instid0(VALU_DEP_1) | instskip(NEXT) | instid1(VALU_DEP_1)
	v_fma_f64 v[28:29], v[26:27], v[28:29], s[52:53]
	;; [unrolled: 3-line block ×5, first 2 shown]
	v_fma_f64 v[28:29], v[26:27], v[28:29], 1.0
	s_delay_alu instid0(VALU_DEP_1) | instskip(SKIP_1) | instid1(VALU_DEP_2)
	v_fma_f64 v[24:25], v[26:27], v[28:29], 1.0
	v_trunc_f64_e32 v[26:27], v[11:12]
	v_ldexp_f64 v[22:23], v[24:25], v6
	v_mul_f64 v[24:25], v[11:12], 0.5
	s_delay_alu instid0(VALU_DEP_3) | instskip(NEXT) | instid1(VALU_DEP_3)
	v_cmp_eq_f64_e64 s4, v[26:27], v[11:12]
	v_cndmask_b32_e64 v6, v22, 0, s1
	s_delay_alu instid0(VALU_DEP_3) | instskip(SKIP_1) | instid1(VALU_DEP_3)
	v_trunc_f64_e32 v[18:19], v[24:25]
	v_cndmask_b32_e64 v28, v23, 0x7ff00000, s1
	v_cndmask_b32_e64 v20, 0, v6, s3
	s_delay_alu instid0(VALU_DEP_2) | instskip(NEXT) | instid1(VALU_DEP_1)
	v_cndmask_b32_e64 v21, 0, v28, s3
	v_fma_f64 v[16:17], v[20:21], v[16:17], v[20:21]
	v_cmp_neq_f64_e64 s5, v[18:19], v[24:25]
	v_cndmask_b32_e64 v18, v9, 0, s0
	s_delay_alu instid0(VALU_DEP_1) | instskip(NEXT) | instid1(VALU_DEP_1)
	v_dual_cndmask_b32 v18, v18, v14 :: v_dual_and_b32 v23, 0x7fffffff, v23
	v_cmp_eq_f64_e64 s2, 0x7ff00000, v[22:23]
	s_delay_alu instid0(VALU_DEP_1) | instskip(NEXT) | instid1(VALU_DEP_4)
	s_or_b32 s2, s1, s2
	s_and_b32 s1, s4, s5
	s_and_b32 s2, s3, s2
	v_cndmask_b32_e64 v6, 0x3ff00000, v8, s1
	v_cndmask_b32_e64 v17, v17, v21, s2
	;; [unrolled: 1-line block ×3, first 2 shown]
	v_cmp_gt_f64_e64 s2, 0, v[11:12]
	v_cmp_eq_f64_e64 s3, 0, v[7:8]
	s_delay_alu instid0(VALU_DEP_4) | instskip(SKIP_3) | instid1(VALU_DEP_4)
	v_bfi_b32 v6, 0x7fffffff, v17, v6
	v_cndmask_b32_e64 v17, v10, 0, s0
	v_cmp_gt_f64_e64 s0, 0, v[7:8]
	v_cndmask_b32_e64 v20, 0, v16, s4
	v_cndmask_b32_e64 v19, 0x7ff80000, v6, s4
	s_delay_alu instid0(VALU_DEP_4) | instskip(SKIP_4) | instid1(SALU_CYCLE_1)
	v_cndmask_b32_e32 v17, v17, v15, vcc_lo
	v_cmp_eq_f64_e32 vcc_lo, 0x7ff00000, v[9:10]
	v_cndmask_b32_e64 v10, 0, v8, s1
	s_mov_b32 s1, exec_lo
	s_xor_b32 s2, s2, s3
	v_cndmask_b32_e64 v9, 0x7ff00000, 0, s2
	v_cndmask_b32_e64 v16, v16, v20, s0
	;; [unrolled: 1-line block ×3, first 2 shown]
	v_cmp_eq_f64_e64 s0, 0x7ff00000, v[14:15]
	s_delay_alu instid0(VALU_DEP_4) | instskip(NEXT) | instid1(VALU_DEP_4)
	v_bfi_b32 v9, 0x7fffffff, v9, v10
                                        ; implicit-def: $vgpr15
	v_cndmask_b32_e32 v14, v16, v18, vcc_lo
	s_delay_alu instid0(VALU_DEP_4) | instskip(NEXT) | instid1(VALU_DEP_4)
	v_cndmask_b32_e32 v6, v6, v17, vcc_lo
	s_or_b32 vcc_lo, s0, s3
	s_delay_alu instid0(VALU_DEP_2) | instid1(SALU_CYCLE_1)
	v_cndmask_b32_e64 v10, v14, 0, vcc_lo
	s_delay_alu instid0(VALU_DEP_2) | instskip(SKIP_1) | instid1(VALU_DEP_2)
	v_cndmask_b32_e32 v14, v6, v9, vcc_lo
	v_cmp_u_f64_e32 vcc_lo, v[7:8], v[11:12]
                                        ; implicit-def: $vgpr11_vgpr12
	v_and_b32_e32 v6, 0x7fffffff, v14
	s_delay_alu instid0(VALU_DEP_1) | instskip(SKIP_1) | instid1(VALU_DEP_1)
	v_cndmask_b32_e64 v8, v6, 0x7ff80000, vcc_lo
	v_cndmask_b32_e64 v7, v10, 0, vcc_lo
                                        ; implicit-def: $vgpr9_vgpr10
	v_cmpx_ngt_f64_e32 0x41d00000, v[7:8]
	s_xor_b32 s2, exec_lo, s1
	s_cbranch_execz .LBB2_6
; %bb.5:                                ;   in Loop: Header=BB2_4 Depth=1
	v_ldexp_f64 v[9:10], v[7:8], 0xffffff80
	v_cmp_le_f64_e64 s0, 0x7b000000, v[7:8]
	v_trig_preop_f64 v[11:12], v[7:8], 0
	v_trig_preop_f64 v[15:16], v[7:8], 1
	v_trig_preop_f64 v[25:26], v[7:8], 2
	s_mov_b32 s6, s68
	s_mov_b32 s97, s95
	s_delay_alu instid0(VALU_DEP_4) | instskip(SKIP_1) | instid1(VALU_DEP_1)
	v_cndmask_b32_e64 v10, v8, v10, s0
	v_cndmask_b32_e64 v9, v7, v9, s0
	v_mul_f64 v[17:18], v[11:12], v[9:10]
	v_mul_f64 v[19:20], v[15:16], v[9:10]
	;; [unrolled: 1-line block ×3, first 2 shown]
	s_delay_alu instid0(VALU_DEP_3) | instskip(NEXT) | instid1(VALU_DEP_3)
	v_fma_f64 v[11:12], v[11:12], v[9:10], -v[17:18]
	v_fma_f64 v[15:16], v[15:16], v[9:10], -v[19:20]
	s_delay_alu instid0(VALU_DEP_3) | instskip(NEXT) | instid1(VALU_DEP_3)
	v_fma_f64 v[9:10], v[25:26], v[9:10], -v[31:32]
	v_add_f64 v[21:22], v[19:20], v[11:12]
	s_delay_alu instid0(VALU_DEP_1) | instskip(SKIP_1) | instid1(VALU_DEP_2)
	v_add_f64 v[23:24], v[21:22], -v[19:20]
	v_add_f64 v[29:30], v[17:18], v[21:22]
	v_add_f64 v[27:28], v[21:22], -v[23:24]
	v_add_f64 v[11:12], v[11:12], -v[23:24]
	s_delay_alu instid0(VALU_DEP_3) | instskip(SKIP_1) | instid1(VALU_DEP_4)
	v_ldexp_f64 v[23:24], v[29:30], -2
	v_add_f64 v[17:18], v[29:30], -v[17:18]
	v_add_f64 v[19:20], v[19:20], -v[27:28]
	v_add_f64 v[27:28], v[31:32], v[15:16]
	s_delay_alu instid0(VALU_DEP_4) | instskip(NEXT) | instid1(VALU_DEP_4)
	v_cmp_neq_f64_e64 s0, 0x7ff00000, |v[23:24]|
	v_add_f64 v[17:18], v[21:22], -v[17:18]
	s_delay_alu instid0(VALU_DEP_4) | instskip(SKIP_1) | instid1(VALU_DEP_2)
	v_add_f64 v[11:12], v[11:12], v[19:20]
	v_fract_f64_e32 v[19:20], v[23:24]
	v_add_f64 v[21:22], v[27:28], v[11:12]
	s_delay_alu instid0(VALU_DEP_2) | instskip(NEXT) | instid1(VALU_DEP_3)
	v_cndmask_b32_e64 v20, 0, v20, s0
	v_cndmask_b32_e64 v19, 0, v19, s0
	s_delay_alu instid0(VALU_DEP_1) | instskip(NEXT) | instid1(VALU_DEP_4)
	v_ldexp_f64 v[19:20], v[19:20], 2
	v_add_f64 v[23:24], v[17:18], v[21:22]
	v_add_f64 v[33:34], v[21:22], -v[27:28]
	s_delay_alu instid0(VALU_DEP_2) | instskip(NEXT) | instid1(VALU_DEP_2)
	v_add_f64 v[29:30], v[23:24], v[19:20]
	v_add_f64 v[39:40], v[21:22], -v[33:34]
	v_add_f64 v[11:12], v[11:12], -v[33:34]
	v_add_f64 v[17:18], v[23:24], -v[17:18]
	s_delay_alu instid0(VALU_DEP_4) | instskip(SKIP_1) | instid1(VALU_DEP_2)
	v_cmp_gt_f64_e64 s0, 0, v[29:30]
	v_add_f64 v[29:30], v[27:28], -v[31:32]
	v_cndmask_b32_e64 v6, 0, 0x40100000, s0
	s_delay_alu instid0(VALU_DEP_2) | instskip(SKIP_2) | instid1(VALU_DEP_4)
	v_add_f64 v[37:38], v[27:28], -v[29:30]
	v_add_f64 v[15:16], v[15:16], -v[29:30]
	;; [unrolled: 1-line block ×3, first 2 shown]
	v_add_f64 v[19:20], v[19:20], v[5:6]
	s_delay_alu instid0(VALU_DEP_4) | instskip(NEXT) | instid1(VALU_DEP_3)
	v_add_f64 v[29:30], v[31:32], -v[37:38]
	v_add_f64 v[11:12], v[11:12], v[27:28]
	s_delay_alu instid0(VALU_DEP_3) | instskip(NEXT) | instid1(VALU_DEP_3)
	v_add_f64 v[35:36], v[23:24], v[19:20]
	v_add_f64 v[15:16], v[15:16], v[29:30]
	s_delay_alu instid0(VALU_DEP_2) | instskip(NEXT) | instid1(VALU_DEP_2)
	v_cvt_i32_f64_e32 v6, v[35:36]
	v_add_f64 v[11:12], v[15:16], v[11:12]
	v_add_f64 v[15:16], v[21:22], -v[17:18]
	s_delay_alu instid0(VALU_DEP_3) | instskip(NEXT) | instid1(VALU_DEP_3)
	v_cvt_f64_i32_e32 v[33:34], v6
	v_add_f64 v[9:10], v[9:10], v[11:12]
	s_delay_alu instid0(VALU_DEP_2) | instskip(NEXT) | instid1(VALU_DEP_2)
	v_add_f64 v[19:20], v[19:20], -v[33:34]
	v_add_f64 v[9:10], v[15:16], v[9:10]
	s_delay_alu instid0(VALU_DEP_2) | instskip(NEXT) | instid1(VALU_DEP_1)
	v_add_f64 v[25:26], v[23:24], v[19:20]
	v_add_f64 v[11:12], v[25:26], -v[19:20]
	v_cmp_le_f64_e64 s0, 0.5, v[25:26]
	s_delay_alu instid0(VALU_DEP_2) | instskip(NEXT) | instid1(VALU_DEP_2)
	v_add_f64 v[11:12], v[23:24], -v[11:12]
	v_add_co_ci_u32_e64 v15, s1, 0, v6, s0
	v_cndmask_b32_e64 v6, 0, 0x3ff00000, s0
	s_delay_alu instid0(VALU_DEP_3) | instskip(NEXT) | instid1(VALU_DEP_2)
	v_add_f64 v[9:10], v[9:10], v[11:12]
	v_add_f64 v[11:12], v[25:26], -v[5:6]
	s_delay_alu instid0(VALU_DEP_1) | instskip(NEXT) | instid1(VALU_DEP_1)
	v_add_f64 v[16:17], v[11:12], v[9:10]
	v_mul_f64 v[18:19], v[16:17], s[6:7]
	v_add_f64 v[11:12], v[16:17], -v[11:12]
	s_delay_alu instid0(VALU_DEP_2) | instskip(NEXT) | instid1(VALU_DEP_2)
	v_fma_f64 v[20:21], v[16:17], s[6:7], -v[18:19]
	v_add_f64 v[9:10], v[9:10], -v[11:12]
	s_delay_alu instid0(VALU_DEP_2) | instskip(NEXT) | instid1(VALU_DEP_1)
	v_fma_f64 v[11:12], v[16:17], s[96:97], v[20:21]
	v_fma_f64 v[11:12], v[9:10], s[6:7], v[11:12]
	s_delay_alu instid0(VALU_DEP_1) | instskip(NEXT) | instid1(VALU_DEP_1)
	v_add_f64 v[9:10], v[18:19], v[11:12]
	v_add_f64 v[16:17], v[9:10], -v[18:19]
	s_delay_alu instid0(VALU_DEP_1)
	v_add_f64 v[11:12], v[11:12], -v[16:17]
.LBB2_6:                                ;   in Loop: Header=BB2_4 Depth=1
	s_and_not1_saveexec_b32 s0, s2
	s_cbranch_execz .LBB2_3
; %bb.7:                                ;   in Loop: Header=BB2_4 Depth=1
	v_mul_f64 v[9:10], v[7:8], s[70:71]
	s_mov_b32 s94, s72
	s_delay_alu instid0(VALU_DEP_1) | instskip(NEXT) | instid1(VALU_DEP_1)
	v_rndne_f64_e32 v[15:16], v[9:10]
	v_fma_f64 v[9:10], v[15:16], s[68:69], v[7:8]
	v_mul_f64 v[11:12], v[15:16], s[72:73]
	s_delay_alu instid0(VALU_DEP_2) | instskip(NEXT) | instid1(VALU_DEP_2)
	v_fma_f64 v[19:20], v[15:16], s[72:73], v[9:10]
	v_add_f64 v[17:18], v[9:10], v[11:12]
	s_delay_alu instid0(VALU_DEP_1) | instskip(NEXT) | instid1(VALU_DEP_3)
	v_add_f64 v[9:10], v[9:10], -v[17:18]
	v_add_f64 v[17:18], v[17:18], -v[19:20]
	s_delay_alu instid0(VALU_DEP_2) | instskip(SKIP_1) | instid1(VALU_DEP_2)
	v_add_f64 v[9:10], v[9:10], v[11:12]
	v_fma_f64 v[11:12], v[15:16], s[94:95], v[11:12]
	v_add_f64 v[9:10], v[17:18], v[9:10]
	s_delay_alu instid0(VALU_DEP_1) | instskip(NEXT) | instid1(VALU_DEP_1)
	v_add_f64 v[9:10], v[9:10], -v[11:12]
	v_fma_f64 v[11:12], v[15:16], s[74:75], v[9:10]
	v_cvt_i32_f64_e32 v15, v[15:16]
	s_delay_alu instid0(VALU_DEP_2) | instskip(NEXT) | instid1(VALU_DEP_1)
	v_add_f64 v[9:10], v[19:20], v[11:12]
	v_add_f64 v[17:18], v[9:10], -v[19:20]
	s_delay_alu instid0(VALU_DEP_1)
	v_add_f64 v[11:12], v[11:12], -v[17:18]
	s_branch .LBB2_3
.LBB2_8:
	s_or_b32 exec_lo, exec_lo, s102
	v_cvt_f64_i32_e32 v[5:6], s33
	s_mov_b32 s0, exec_lo
	s_delay_alu instid0(VALU_DEP_1)
	v_cmpx_eq_f64_e32 v[1:2], v[5:6]
	s_cbranch_execz .LBB2_10
; %bb.9:
	global_store_b64 v[3:4], v[1:2], off
.LBB2_10:
	s_nop 0
	s_sendmsg sendmsg(MSG_DEALLOC_VGPRS)
	s_endpgm
	.section	.rodata,"a",@progbits
	.p2align	6, 0x0
	.amdhsa_kernel _Z8ldsboundiPd
		.amdhsa_group_segment_fixed_size 65536
		.amdhsa_private_segment_fixed_size 0
		.amdhsa_kernarg_size 272
		.amdhsa_user_sgpr_count 15
		.amdhsa_user_sgpr_dispatch_ptr 0
		.amdhsa_user_sgpr_queue_ptr 0
		.amdhsa_user_sgpr_kernarg_segment_ptr 1
		.amdhsa_user_sgpr_dispatch_id 0
		.amdhsa_user_sgpr_private_segment_size 0
		.amdhsa_wavefront_size32 1
		.amdhsa_uses_dynamic_stack 0
		.amdhsa_enable_private_segment 0
		.amdhsa_system_sgpr_workgroup_id_x 1
		.amdhsa_system_sgpr_workgroup_id_y 0
		.amdhsa_system_sgpr_workgroup_id_z 0
		.amdhsa_system_sgpr_workgroup_info 0
		.amdhsa_system_vgpr_workitem_id 0
		.amdhsa_next_free_vgpr 41
		.amdhsa_next_free_sgpr 103
		.amdhsa_reserve_vcc 1
		.amdhsa_float_round_mode_32 0
		.amdhsa_float_round_mode_16_64 0
		.amdhsa_float_denorm_mode_32 3
		.amdhsa_float_denorm_mode_16_64 3
		.amdhsa_dx10_clamp 1
		.amdhsa_ieee_mode 1
		.amdhsa_fp16_overflow 0
		.amdhsa_workgroup_processor_mode 1
		.amdhsa_memory_ordered 1
		.amdhsa_forward_progress 0
		.amdhsa_shared_vgpr_count 0
		.amdhsa_exception_fp_ieee_invalid_op 0
		.amdhsa_exception_fp_denorm_src 0
		.amdhsa_exception_fp_ieee_div_zero 0
		.amdhsa_exception_fp_ieee_overflow 0
		.amdhsa_exception_fp_ieee_underflow 0
		.amdhsa_exception_fp_ieee_inexact 0
		.amdhsa_exception_int_div_zero 0
	.end_amdhsa_kernel
	.text
.Lfunc_end2:
	.size	_Z8ldsboundiPd, .Lfunc_end2-_Z8ldsboundiPd
                                        ; -- End function
	.section	.AMDGPU.csdata,"",@progbits
; Kernel info:
; codeLenInByte = 4192
; NumSgprs: 105
; NumVgprs: 41
; ScratchSize: 0
; MemoryBound: 0
; FloatMode: 240
; IeeeMode: 1
; LDSByteSize: 65536 bytes/workgroup (compile time only)
; SGPRBlocks: 13
; VGPRBlocks: 5
; NumSGPRsForWavesPerEU: 105
; NumVGPRsForWavesPerEU: 41
; Occupancy: 4
; WaveLimiterHint : 0
; COMPUTE_PGM_RSRC2:SCRATCH_EN: 0
; COMPUTE_PGM_RSRC2:USER_SGPR: 15
; COMPUTE_PGM_RSRC2:TRAP_HANDLER: 0
; COMPUTE_PGM_RSRC2:TGID_X_EN: 1
; COMPUTE_PGM_RSRC2:TGID_Y_EN: 0
; COMPUTE_PGM_RSRC2:TGID_Z_EN: 0
; COMPUTE_PGM_RSRC2:TIDIG_COMP_CNT: 0
	.text
	.protected	_Z9sgprboundiPd         ; -- Begin function _Z9sgprboundiPd
	.globl	_Z9sgprboundiPd
	.p2align	8
	.type	_Z9sgprboundiPd,@function
_Z9sgprboundiPd:                        ; @_Z9sgprboundiPd
; %bb.0:
                                        ; implicit-def: $vgpr33 : SGPR spill to VGPR lane
	s_mov_b32 s16, 0x55555555
	v_writelane_b32 v33, s0, 0
	s_mov_b32 s64, 0x11110bb3
	s_mov_b32 s17, 0x3fa55555
	;; [unrolled: 1-line block ×4, first 2 shown]
	v_writelane_b32 v33, s1, 1
	s_load_b64 s[0:1], s[0:1], 0x8
	s_mov_b32 s20, 0x4222de17
	s_mov_b32 s22, 0x3abe935a
	;; [unrolled: 1-line block ×19, first 2 shown]
	s_waitcnt lgkmcnt(0)
	v_writelane_b32 v33, s0, 2
	s_load_b64 s[8:9], s[0:1], 0x0
	s_mov_b32 s70, 0x55555511
	s_mov_b32 s72, 11
	;; [unrolled: 1-line block ×13, first 2 shown]
	s_mov_b64 s[14:15], 0
	s_movk_i32 s33, 0x64
	s_mov_b32 s10, 0
	s_mov_b32 s13, 0x3fe55555
	;; [unrolled: 1-line block ×45, first 2 shown]
	s_mov_b32 vcc_hi, 0xbfc55555
	v_writelane_b32 v33, s1, 3
.LBB3_1:                                ; =>This Inner Loop Header: Depth=1
	v_cmp_eq_f64_e64 s0, s[14:15], 0
	v_cmp_lt_f64_e64 s18, s[14:15], 0
	s_delay_alu instid0(VALU_DEP_2)
	s_and_b32 s1, s0, exec_lo
	s_cselect_b32 s77, 0x3ff00000, s15
	s_cselect_b32 s76, 0, s14
	s_and_b32 s100, s15, 0x7fffffff
	s_and_b32 s0, s0, exec_lo
	s_cselect_b32 s1, 0x3ff00000, s100
	s_cselect_b32 s0, 0, s14
	s_delay_alu instid0(SALU_CYCLE_1) | instskip(SKIP_1) | instid1(VALU_DEP_2)
	v_frexp_mant_f64_e32 v[0:1], s[0:1]
	v_cmp_eq_f64_e64 s104, s[0:1], 1.0
	v_cmp_gt_f64_e32 vcc_lo, s[12:13], v[0:1]
	s_and_b32 s2, vcc_lo, exec_lo
	s_cselect_b32 s11, 2.0, 0x3ff00000
	s_mov_b32 s2, 0x968915a9
	v_mul_f64 v[0:1], v[0:1], s[10:11]
	s_mov_b32 s3, 0x3fba6564
	v_cmp_neq_f64_e64 s11, s[14:15], 1.0
	s_delay_alu instid0(VALU_DEP_2) | instskip(SKIP_1) | instid1(VALU_DEP_2)
	v_add_f64 v[2:3], v[0:1], 1.0
	v_add_f64 v[8:9], v[0:1], -1.0
	v_rcp_f64_e32 v[4:5], v[2:3]
	s_waitcnt_depctr 0xfff
	v_fma_f64 v[6:7], -v[2:3], v[4:5], 1.0
	s_delay_alu instid0(VALU_DEP_1) | instskip(NEXT) | instid1(VALU_DEP_1)
	v_fma_f64 v[4:5], v[6:7], v[4:5], v[4:5]
	v_fma_f64 v[6:7], -v[2:3], v[4:5], 1.0
	s_delay_alu instid0(VALU_DEP_1) | instskip(SKIP_1) | instid1(VALU_DEP_2)
	v_fma_f64 v[4:5], v[6:7], v[4:5], v[4:5]
	v_add_f64 v[6:7], v[2:3], -1.0
	v_mul_f64 v[10:11], v[8:9], v[4:5]
	s_delay_alu instid0(VALU_DEP_2) | instskip(NEXT) | instid1(VALU_DEP_2)
	v_add_f64 v[0:1], v[0:1], -v[6:7]
	v_mul_f64 v[6:7], v[2:3], v[10:11]
	s_delay_alu instid0(VALU_DEP_1) | instskip(NEXT) | instid1(VALU_DEP_1)
	v_fma_f64 v[2:3], v[10:11], v[2:3], -v[6:7]
	v_fma_f64 v[0:1], v[10:11], v[0:1], v[2:3]
	s_delay_alu instid0(VALU_DEP_1) | instskip(NEXT) | instid1(VALU_DEP_1)
	v_add_f64 v[2:3], v[6:7], v[0:1]
	v_add_f64 v[6:7], v[2:3], -v[6:7]
	s_delay_alu instid0(VALU_DEP_1) | instskip(SKIP_1) | instid1(VALU_DEP_1)
	v_add_f64 v[0:1], v[6:7], -v[0:1]
	v_add_f64 v[6:7], v[8:9], -v[2:3]
	;; [unrolled: 1-line block ×3, first 2 shown]
	s_delay_alu instid0(VALU_DEP_1) | instskip(NEXT) | instid1(VALU_DEP_1)
	v_add_f64 v[2:3], v[8:9], -v[2:3]
	v_add_f64 v[0:1], v[0:1], v[2:3]
	s_delay_alu instid0(VALU_DEP_1) | instskip(NEXT) | instid1(VALU_DEP_1)
	v_add_f64 v[0:1], v[6:7], v[0:1]
	v_mul_f64 v[0:1], v[4:5], v[0:1]
	s_delay_alu instid0(VALU_DEP_1) | instskip(NEXT) | instid1(VALU_DEP_1)
	v_add_f64 v[2:3], v[10:11], v[0:1]
	v_add_f64 v[4:5], v[2:3], -v[10:11]
	v_mul_f64 v[6:7], v[2:3], v[2:3]
	s_delay_alu instid0(VALU_DEP_2) | instskip(NEXT) | instid1(VALU_DEP_2)
	v_add_f64 v[0:1], v[0:1], -v[4:5]
	v_fma_f64 v[4:5], v[2:3], v[2:3], -v[6:7]
	s_delay_alu instid0(VALU_DEP_2) | instskip(NEXT) | instid1(VALU_DEP_1)
	v_add_f64 v[8:9], v[0:1], v[0:1]
	v_fma_f64 v[4:5], v[2:3], v[8:9], v[4:5]
	s_delay_alu instid0(VALU_DEP_1) | instskip(NEXT) | instid1(VALU_DEP_1)
	v_add_f64 v[8:9], v[6:7], v[4:5]
	v_fma_f64 v[10:11], v[8:9], s[20:21], s[2:3]
	v_add_f64 v[6:7], v[8:9], -v[6:7]
	s_delay_alu instid0(VALU_DEP_2) | instskip(NEXT) | instid1(VALU_DEP_2)
	v_fma_f64 v[10:11], v[8:9], v[10:11], s[22:23]
	v_add_f64 v[4:5], v[4:5], -v[6:7]
	s_delay_alu instid0(VALU_DEP_2) | instskip(NEXT) | instid1(VALU_DEP_1)
	v_fma_f64 v[10:11], v[8:9], v[10:11], s[24:25]
	v_fma_f64 v[10:11], v[8:9], v[10:11], s[26:27]
	s_delay_alu instid0(VALU_DEP_1) | instskip(NEXT) | instid1(VALU_DEP_1)
	v_fma_f64 v[10:11], v[8:9], v[10:11], s[28:29]
	v_fma_f64 v[10:11], v[8:9], v[10:11], s[30:31]
	s_delay_alu instid0(VALU_DEP_1) | instskip(NEXT) | instid1(VALU_DEP_1)
	;; [unrolled: 3-line block ×3, first 2 shown]
	v_mul_f64 v[6:7], v[8:9], v[10:11]
	v_fma_f64 v[12:13], v[8:9], v[10:11], -v[6:7]
	s_delay_alu instid0(VALU_DEP_1) | instskip(SKIP_1) | instid1(VALU_DEP_1)
	v_fma_f64 v[10:11], v[4:5], v[10:11], v[12:13]
	v_mul_f64 v[12:13], v[2:3], v[8:9]
	v_fma_f64 v[14:15], v[8:9], v[2:3], -v[12:13]
	s_delay_alu instid0(VALU_DEP_1) | instskip(NEXT) | instid1(VALU_DEP_4)
	v_fma_f64 v[8:9], v[8:9], v[0:1], v[14:15]
	v_add_f64 v[14:15], v[6:7], v[10:11]
	v_ldexp_f64 v[0:1], v[0:1], 1
	s_delay_alu instid0(VALU_DEP_3) | instskip(NEXT) | instid1(VALU_DEP_3)
	v_fma_f64 v[4:5], v[4:5], v[2:3], v[8:9]
	v_add_f64 v[6:7], v[14:15], -v[6:7]
	v_ldexp_f64 v[2:3], v[2:3], 1
	s_delay_alu instid0(VALU_DEP_2) | instskip(SKIP_1) | instid1(VALU_DEP_2)
	v_add_f64 v[6:7], v[10:11], -v[6:7]
	v_add_f64 v[10:11], v[14:15], s[12:13]
	v_add_f64 v[6:7], v[6:7], s[44:45]
	s_delay_alu instid0(VALU_DEP_2) | instskip(NEXT) | instid1(VALU_DEP_1)
	v_add_f64 v[16:17], v[10:11], s[42:43]
	v_add_f64 v[14:15], v[14:15], -v[16:17]
	s_delay_alu instid0(VALU_DEP_1) | instskip(NEXT) | instid1(VALU_DEP_1)
	v_add_f64 v[6:7], v[6:7], v[14:15]
	v_add_f64 v[8:9], v[10:11], v[6:7]
	s_delay_alu instid0(VALU_DEP_1) | instskip(NEXT) | instid1(VALU_DEP_1)
	v_add_f64 v[10:11], v[10:11], -v[8:9]
	v_add_f64 v[6:7], v[6:7], v[10:11]
	v_add_f64 v[10:11], v[12:13], v[4:5]
	s_delay_alu instid0(VALU_DEP_1) | instskip(NEXT) | instid1(VALU_DEP_1)
	v_mul_f64 v[14:15], v[10:11], v[8:9]
	v_fma_f64 v[16:17], v[10:11], v[8:9], -v[14:15]
	s_delay_alu instid0(VALU_DEP_1) | instskip(SKIP_1) | instid1(VALU_DEP_1)
	v_fma_f64 v[6:7], v[10:11], v[6:7], v[16:17]
	v_add_f64 v[10:11], v[10:11], -v[12:13]
	v_add_f64 v[4:5], v[4:5], -v[10:11]
	v_frexp_exp_i32_f64_e32 v10, s[0:1]
	s_delay_alu instid0(VALU_DEP_2) | instskip(NEXT) | instid1(VALU_DEP_2)
	v_fma_f64 v[4:5], v[4:5], v[8:9], v[6:7]
	v_subrev_co_ci_u32_e32 v10, vcc_lo, 0, v10, vcc_lo
	s_delay_alu instid0(VALU_DEP_1) | instskip(NEXT) | instid1(VALU_DEP_1)
	v_cvt_f64_i32_e32 v[6:7], v10
	v_mul_f64 v[8:9], v[6:7], s[38:39]
	s_delay_alu instid0(VALU_DEP_1) | instskip(NEXT) | instid1(VALU_DEP_1)
	v_fma_f64 v[10:11], v[6:7], s[38:39], -v[8:9]
	v_fma_f64 v[6:7], v[6:7], s[40:41], v[10:11]
	v_add_f64 v[10:11], v[14:15], v[4:5]
	s_delay_alu instid0(VALU_DEP_1) | instskip(NEXT) | instid1(VALU_DEP_1)
	v_add_f64 v[12:13], v[10:11], -v[14:15]
	v_add_f64 v[4:5], v[4:5], -v[12:13]
	v_add_f64 v[12:13], v[2:3], v[10:11]
	s_delay_alu instid0(VALU_DEP_2) | instskip(NEXT) | instid1(VALU_DEP_2)
	v_add_f64 v[0:1], v[0:1], v[4:5]
	v_add_f64 v[2:3], v[12:13], -v[2:3]
	v_add_f64 v[4:5], v[8:9], v[6:7]
	s_delay_alu instid0(VALU_DEP_2) | instskip(NEXT) | instid1(VALU_DEP_1)
	v_add_f64 v[2:3], v[10:11], -v[2:3]
	v_add_f64 v[0:1], v[0:1], v[2:3]
	s_delay_alu instid0(VALU_DEP_3) | instskip(NEXT) | instid1(VALU_DEP_2)
	v_add_f64 v[2:3], v[4:5], -v[8:9]
	v_add_f64 v[8:9], v[12:13], v[0:1]
	s_delay_alu instid0(VALU_DEP_2) | instskip(NEXT) | instid1(VALU_DEP_2)
	v_add_f64 v[2:3], v[6:7], -v[2:3]
	v_add_f64 v[6:7], v[8:9], -v[12:13]
	v_add_f64 v[10:11], v[4:5], v[8:9]
	s_delay_alu instid0(VALU_DEP_2) | instskip(NEXT) | instid1(VALU_DEP_2)
	v_add_f64 v[0:1], v[0:1], -v[6:7]
	v_add_f64 v[6:7], v[10:11], -v[4:5]
	s_delay_alu instid0(VALU_DEP_1) | instskip(SKIP_1) | instid1(VALU_DEP_1)
	v_add_f64 v[8:9], v[8:9], -v[6:7]
	v_add_f64 v[6:7], v[10:11], -v[6:7]
	;; [unrolled: 1-line block ×3, first 2 shown]
	v_add_f64 v[6:7], v[2:3], v[0:1]
	s_delay_alu instid0(VALU_DEP_2) | instskip(NEXT) | instid1(VALU_DEP_2)
	v_add_f64 v[4:5], v[8:9], v[4:5]
	v_add_f64 v[8:9], v[6:7], -v[2:3]
	s_delay_alu instid0(VALU_DEP_2) | instskip(NEXT) | instid1(VALU_DEP_2)
	v_add_f64 v[4:5], v[6:7], v[4:5]
	v_add_f64 v[6:7], v[6:7], -v[8:9]
	v_add_f64 v[0:1], v[0:1], -v[8:9]
	s_delay_alu instid0(VALU_DEP_3) | instskip(NEXT) | instid1(VALU_DEP_3)
	v_add_f64 v[8:9], v[10:11], v[4:5]
	v_add_f64 v[2:3], v[2:3], -v[6:7]
	s_delay_alu instid0(VALU_DEP_2) | instskip(NEXT) | instid1(VALU_DEP_2)
	v_add_f64 v[6:7], v[8:9], -v[10:11]
	v_add_f64 v[0:1], v[0:1], v[2:3]
	s_delay_alu instid0(VALU_DEP_2) | instskip(NEXT) | instid1(VALU_DEP_1)
	v_add_f64 v[2:3], v[4:5], -v[6:7]
	v_add_f64 v[0:1], v[0:1], v[2:3]
	s_delay_alu instid0(VALU_DEP_1) | instskip(NEXT) | instid1(VALU_DEP_1)
	v_add_f64 v[2:3], v[8:9], v[0:1]
	v_add_f64 v[4:5], v[2:3], -v[8:9]
	v_mul_f64 v[6:7], s[14:15], v[2:3]
	s_delay_alu instid0(VALU_DEP_2) | instskip(NEXT) | instid1(VALU_DEP_2)
	v_add_f64 v[0:1], v[0:1], -v[4:5]
	v_fma_f64 v[2:3], s[14:15], v[2:3], -v[6:7]
	v_cmp_class_f64_e64 vcc_lo, v[6:7], 0x204
	s_delay_alu instid0(VALU_DEP_2) | instskip(NEXT) | instid1(VALU_DEP_1)
	v_fma_f64 v[0:1], s[14:15], v[0:1], v[2:3]
	v_add_f64 v[2:3], v[6:7], v[0:1]
	s_delay_alu instid0(VALU_DEP_1) | instskip(SKIP_2) | instid1(VALU_DEP_3)
	v_dual_cndmask_b32 v5, v3, v7 :: v_dual_cndmask_b32 v4, v2, v6
	v_add_f64 v[2:3], v[2:3], -v[6:7]
	v_mul_f64 v[6:7], s[14:15], 0.5
	v_mul_f64 v[8:9], v[4:5], s[46:47]
	v_cmp_lt_f64_e32 vcc_lo, 0x40900000, v[4:5]
	v_cmp_neq_f64_e64 s2, 0x7ff00000, |v[4:5]|
	v_cmp_ngt_f64_e64 s3, 0xc090cc00, v[4:5]
	v_add_f64 v[0:1], v[0:1], -v[2:3]
	v_trunc_f64_e32 v[2:3], v[6:7]
	v_rndne_f64_e32 v[8:9], v[8:9]
	s_delay_alu instid0(VALU_DEP_3) | instskip(NEXT) | instid1(VALU_DEP_3)
	v_cndmask_b32_e64 v1, 0, v1, s2
	v_cmp_neq_f64_e64 s6, v[2:3], v[6:7]
	v_cndmask_b32_e64 v0, 0, v0, s2
	s_delay_alu instid0(VALU_DEP_4) | instskip(SKIP_1) | instid1(VALU_DEP_2)
	v_fma_f64 v[10:11], v[8:9], s[48:49], v[4:5]
	v_cvt_i32_f64_e32 v12, v[8:9]
	v_fma_f64 v[10:11], v[8:9], s[50:51], v[10:11]
	s_delay_alu instid0(VALU_DEP_1) | instskip(NEXT) | instid1(VALU_DEP_1)
	v_fma_f64 v[8:9], v[10:11], s[54:55], s[52:53]
	v_fma_f64 v[8:9], v[10:11], v[8:9], s[56:57]
	s_delay_alu instid0(VALU_DEP_1) | instskip(NEXT) | instid1(VALU_DEP_1)
	v_fma_f64 v[8:9], v[10:11], v[8:9], s[58:59]
	;; [unrolled: 3-line block ×5, first 2 shown]
	v_fma_f64 v[8:9], v[10:11], v[8:9], 1.0
	s_delay_alu instid0(VALU_DEP_1) | instskip(SKIP_1) | instid1(VALU_DEP_2)
	v_fma_f64 v[8:9], v[10:11], v[8:9], 1.0
	v_trunc_f64_e32 v[10:11], s[14:15]
	v_ldexp_f64 v[8:9], v[8:9], v12
	s_delay_alu instid0(VALU_DEP_2) | instskip(NEXT) | instid1(VALU_DEP_2)
	v_cmp_eq_f64_e64 s4, s[14:15], v[10:11]
	v_cndmask_b32_e64 v4, v9, 0x7ff00000, vcc_lo
	s_delay_alu instid0(VALU_DEP_3) | instskip(NEXT) | instid1(VALU_DEP_3)
	v_cndmask_b32_e64 v2, v8, 0, vcc_lo
	s_and_b32 s6, s4, s6
	s_delay_alu instid0(VALU_DEP_2) | instskip(NEXT) | instid1(VALU_DEP_2)
	v_cndmask_b32_e64 v3, 0, v4, s3
	v_cndmask_b32_e64 v2, 0, v2, s3
	s_delay_alu instid0(VALU_DEP_1) | instskip(SKIP_1) | instid1(VALU_DEP_1)
	v_fma_f64 v[0:1], v[2:3], v[0:1], v[2:3]
	v_and_b32_e32 v9, 0x7fffffff, v9
	v_cmp_eq_f64_e64 s5, 0x7ff00000, v[8:9]
	s_delay_alu instid0(VALU_DEP_1) | instskip(SKIP_3) | instid1(VALU_DEP_4)
	s_or_b32 s2, vcc_lo, s5
	v_cmp_u_f64_e64 s5, s[76:77], s[14:15]
	s_and_b32 vcc_lo, s3, s2
	s_and_b32 s2, s6, exec_lo
	v_cndmask_b32_e32 v0, v0, v2, vcc_lo
	s_cselect_b32 s103, s77, 0x3ff00000
	s_and_b32 s2, s11, exec_lo
	s_cselect_b32 s81, s100, 0x3ff00000
	s_cselect_b32 s80, s14, 0
	v_cmp_lt_f64_e64 s11, s[0:1], 1.0
	v_cmp_neq_f64_e64 s100, s[14:15], s[80:81]
	v_cmp_lt_f64_e64 s2, s[76:77], 0
	v_cmp_eq_f64_e64 s19, 0x7ff00000, s[80:81]
	v_cmp_eq_f64_e64 s3, 0x7ff00000, s[0:1]
	s_delay_alu instid0(VALU_DEP_4) | instskip(NEXT) | instid1(SALU_CYCLE_1)
	s_xor_b32 s11, s100, s11
	s_and_b32 s11, s11, exec_lo
	s_cselect_b32 s11, 0, s81
	s_cselect_b32 s14, 0, s80
	s_and_b32 s15, s104, exec_lo
	s_cselect_b32 s1, s1, s11
	s_cselect_b32 s0, s0, s14
	s_and_b32 s11, s18, exec_lo
	s_cselect_b32 s11, 0, 0x7ff00000
	s_and_b32 s6, s6, exec_lo
	s_cselect_b32 s6, s77, 0
	v_cndmask_b32_e32 v1, v1, v3, vcc_lo
	v_cndmask_b32_e64 v3, 0, v0, s4
	s_delay_alu instid0(VALU_DEP_2) | instskip(NEXT) | instid1(VALU_DEP_2)
	v_bfi_b32 v1, 0x7fffffff, v1, s103
	v_cndmask_b32_e64 v0, v0, v3, s2
	s_delay_alu instid0(VALU_DEP_2) | instskip(NEXT) | instid1(VALU_DEP_2)
	v_cndmask_b32_e64 v2, 0x7ff80000, v1, s4
	v_cndmask_b32_e64 v0, v0, s0, s19
	s_delay_alu instid0(VALU_DEP_2) | instskip(SKIP_1) | instid1(VALU_DEP_3)
	v_cndmask_b32_e64 v1, v1, v2, s2
	v_mov_b32_e32 v2, s6
	v_cndmask_b32_e64 v0, v0, 0, s3
	s_delay_alu instid0(VALU_DEP_3) | instskip(NEXT) | instid1(VALU_DEP_3)
	v_cndmask_b32_e64 v1, v1, s1, s19
	v_bfi_b32 v2, 0x7fffffff, s11, v2
	s_delay_alu instid0(VALU_DEP_3) | instskip(NEXT) | instid1(VALU_DEP_2)
	v_cndmask_b32_e64 v0, v0, 0, s5
	v_cndmask_b32_e64 v6, v1, v2, s3
	s_delay_alu instid0(VALU_DEP_1) | instskip(NEXT) | instid1(VALU_DEP_1)
	v_and_b32_e32 v1, 0x7fffffff, v6
	v_cndmask_b32_e64 v1, v1, 0x7ff80000, s5
	s_delay_alu instid0(VALU_DEP_1)
	v_cmp_ngt_f64_e32 vcc_lo, 0x41d00000, v[0:1]
	s_cbranch_vccz .LBB3_3
; %bb.2:                                ;   in Loop: Header=BB3_1 Depth=1
	v_ldexp_f64 v[2:3], v[0:1], 0xffffff80
	v_cmp_le_f64_e32 vcc_lo, 0x7b000000, v[0:1]
	v_trig_preop_f64 v[4:5], v[0:1], 0
	v_trig_preop_f64 v[7:8], v[0:1], 1
	;; [unrolled: 1-line block ×3, first 2 shown]
	s_mov_b32 s6, s74
	s_mov_b32 s103, s101
	v_dual_cndmask_b32 v3, v1, v3 :: v_dual_cndmask_b32 v2, v0, v2
	s_delay_alu instid0(VALU_DEP_1) | instskip(NEXT) | instid1(VALU_DEP_4)
	v_mul_f64 v[9:10], v[4:5], v[2:3]
	v_mul_f64 v[11:12], v[7:8], v[2:3]
	s_delay_alu instid0(VALU_DEP_4) | instskip(NEXT) | instid1(VALU_DEP_3)
	v_mul_f64 v[23:24], v[17:18], v[2:3]
	v_fma_f64 v[4:5], v[4:5], v[2:3], -v[9:10]
	s_delay_alu instid0(VALU_DEP_3) | instskip(NEXT) | instid1(VALU_DEP_3)
	v_fma_f64 v[7:8], v[7:8], v[2:3], -v[11:12]
	v_fma_f64 v[2:3], v[17:18], v[2:3], -v[23:24]
	s_delay_alu instid0(VALU_DEP_3) | instskip(NEXT) | instid1(VALU_DEP_1)
	v_add_f64 v[13:14], v[11:12], v[4:5]
	v_add_f64 v[15:16], v[13:14], -v[11:12]
	v_add_f64 v[21:22], v[9:10], v[13:14]
	s_delay_alu instid0(VALU_DEP_2) | instskip(SKIP_1) | instid1(VALU_DEP_3)
	v_add_f64 v[19:20], v[13:14], -v[15:16]
	v_add_f64 v[4:5], v[4:5], -v[15:16]
	v_ldexp_f64 v[15:16], v[21:22], -2
	v_add_f64 v[9:10], v[21:22], -v[9:10]
	s_delay_alu instid0(VALU_DEP_4) | instskip(SKIP_1) | instid1(VALU_DEP_4)
	v_add_f64 v[11:12], v[11:12], -v[19:20]
	v_add_f64 v[19:20], v[23:24], v[7:8]
	v_cmp_neq_f64_e64 vcc_lo, 0x7ff00000, |v[15:16]|
	s_delay_alu instid0(VALU_DEP_4) | instskip(NEXT) | instid1(VALU_DEP_4)
	v_add_f64 v[9:10], v[13:14], -v[9:10]
	v_add_f64 v[4:5], v[4:5], v[11:12]
	v_fract_f64_e32 v[11:12], v[15:16]
	s_delay_alu instid0(VALU_DEP_2) | instskip(NEXT) | instid1(VALU_DEP_2)
	v_add_f64 v[13:14], v[19:20], v[4:5]
	v_dual_cndmask_b32 v12, 0, v12 :: v_dual_cndmask_b32 v11, 0, v11
	s_delay_alu instid0(VALU_DEP_1) | instskip(NEXT) | instid1(VALU_DEP_3)
	v_ldexp_f64 v[11:12], v[11:12], 2
	v_add_f64 v[15:16], v[9:10], v[13:14]
	v_add_f64 v[25:26], v[13:14], -v[19:20]
	s_delay_alu instid0(VALU_DEP_2) | instskip(NEXT) | instid1(VALU_DEP_2)
	v_add_f64 v[21:22], v[15:16], v[11:12]
	v_add_f64 v[31:32], v[13:14], -v[25:26]
	v_add_f64 v[4:5], v[4:5], -v[25:26]
	;; [unrolled: 1-line block ×3, first 2 shown]
	s_delay_alu instid0(VALU_DEP_4) | instskip(SKIP_3) | instid1(VALU_DEP_1)
	v_cmp_gt_f64_e32 vcc_lo, 0, v[21:22]
	v_add_f64 v[21:22], v[19:20], -v[23:24]
	s_and_b32 s0, vcc_lo, exec_lo
	s_cselect_b32 s11, 0x40100000, 0
	v_add_f64 v[29:30], v[19:20], -v[21:22]
	v_add_f64 v[11:12], v[11:12], s[10:11]
	v_add_f64 v[7:8], v[7:8], -v[21:22]
	v_add_f64 v[19:20], v[19:20], -v[31:32]
	s_delay_alu instid0(VALU_DEP_4) | instskip(NEXT) | instid1(VALU_DEP_4)
	v_add_f64 v[21:22], v[23:24], -v[29:30]
	v_add_f64 v[27:28], v[15:16], v[11:12]
	s_delay_alu instid0(VALU_DEP_3) | instskip(NEXT) | instid1(VALU_DEP_3)
	v_add_f64 v[4:5], v[4:5], v[19:20]
	v_add_f64 v[7:8], v[7:8], v[21:22]
	s_delay_alu instid0(VALU_DEP_3) | instskip(NEXT) | instid1(VALU_DEP_2)
	v_cvt_i32_f64_e32 v27, v[27:28]
	v_add_f64 v[4:5], v[7:8], v[4:5]
	s_delay_alu instid0(VALU_DEP_2) | instskip(SKIP_1) | instid1(VALU_DEP_3)
	v_cvt_f64_i32_e32 v[25:26], v27
	v_add_f64 v[7:8], v[13:14], -v[9:10]
	v_add_f64 v[2:3], v[2:3], v[4:5]
	s_delay_alu instid0(VALU_DEP_3) | instskip(NEXT) | instid1(VALU_DEP_2)
	v_add_f64 v[11:12], v[11:12], -v[25:26]
	v_add_f64 v[2:3], v[7:8], v[2:3]
	s_delay_alu instid0(VALU_DEP_2) | instskip(NEXT) | instid1(VALU_DEP_1)
	v_add_f64 v[17:18], v[15:16], v[11:12]
	v_add_f64 v[4:5], v[17:18], -v[11:12]
	v_cmp_le_f64_e32 vcc_lo, 0.5, v[17:18]
	s_delay_alu instid0(VALU_DEP_2) | instskip(SKIP_3) | instid1(VALU_DEP_2)
	v_add_f64 v[4:5], v[15:16], -v[4:5]
	s_and_b32 s0, vcc_lo, exec_lo
	s_cselect_b32 s11, 0x3ff00000, 0
	v_add_co_ci_u32_e64 v7, s2, 0, v27, vcc_lo
	v_add_f64 v[2:3], v[2:3], v[4:5]
	v_add_f64 v[4:5], v[17:18], -s[10:11]
	s_delay_alu instid0(VALU_DEP_1) | instskip(NEXT) | instid1(VALU_DEP_1)
	v_add_f64 v[8:9], v[4:5], v[2:3]
	v_mul_f64 v[10:11], v[8:9], s[6:7]
	v_add_f64 v[4:5], v[8:9], -v[4:5]
	s_delay_alu instid0(VALU_DEP_2) | instskip(NEXT) | instid1(VALU_DEP_2)
	v_fma_f64 v[12:13], v[8:9], s[6:7], -v[10:11]
	v_add_f64 v[2:3], v[2:3], -v[4:5]
	s_delay_alu instid0(VALU_DEP_2) | instskip(NEXT) | instid1(VALU_DEP_1)
	v_fma_f64 v[4:5], v[8:9], s[102:103], v[12:13]
	v_fma_f64 v[4:5], v[2:3], s[6:7], v[4:5]
	s_delay_alu instid0(VALU_DEP_1) | instskip(NEXT) | instid1(VALU_DEP_1)
	v_add_f64 v[2:3], v[10:11], v[4:5]
	v_add_f64 v[8:9], v[2:3], -v[10:11]
	s_delay_alu instid0(VALU_DEP_1)
	v_add_f64 v[4:5], v[4:5], -v[8:9]
	s_cbranch_execz .LBB3_4
	s_branch .LBB3_5
.LBB3_3:                                ;   in Loop: Header=BB3_1 Depth=1
                                        ; implicit-def: $vgpr7
                                        ; implicit-def: $vgpr2_vgpr3
                                        ; implicit-def: $vgpr4_vgpr5
.LBB3_4:                                ;   in Loop: Header=BB3_1 Depth=1
	s_mov_b32 s0, 0x6dc9c883
	s_mov_b32 s1, 0x3fe45f30
	;; [unrolled: 1-line block ×3, first 2 shown]
	v_mul_f64 v[2:3], v[0:1], s[0:1]
	s_mov_b32 s0, 0x252049c0
	s_mov_b32 s1, 0xb97b839a
	s_delay_alu instid0(VALU_DEP_1) | instskip(NEXT) | instid1(VALU_DEP_1)
	v_rndne_f64_e32 v[7:8], v[2:3]
	v_fma_f64 v[2:3], v[7:8], s[74:75], v[0:1]
	v_mul_f64 v[4:5], v[7:8], s[78:79]
	s_delay_alu instid0(VALU_DEP_2) | instskip(NEXT) | instid1(VALU_DEP_2)
	v_fma_f64 v[11:12], v[7:8], s[78:79], v[2:3]
	v_add_f64 v[9:10], v[2:3], v[4:5]
	s_delay_alu instid0(VALU_DEP_1) | instskip(NEXT) | instid1(VALU_DEP_3)
	v_add_f64 v[2:3], v[2:3], -v[9:10]
	v_add_f64 v[9:10], v[9:10], -v[11:12]
	s_delay_alu instid0(VALU_DEP_2) | instskip(SKIP_1) | instid1(VALU_DEP_2)
	v_add_f64 v[2:3], v[2:3], v[4:5]
	v_fma_f64 v[4:5], v[7:8], s[100:101], v[4:5]
	v_add_f64 v[2:3], v[9:10], v[2:3]
	s_delay_alu instid0(VALU_DEP_1) | instskip(NEXT) | instid1(VALU_DEP_1)
	v_add_f64 v[2:3], v[2:3], -v[4:5]
	v_fma_f64 v[4:5], v[7:8], s[0:1], v[2:3]
	v_cvt_i32_f64_e32 v7, v[7:8]
	s_delay_alu instid0(VALU_DEP_2) | instskip(NEXT) | instid1(VALU_DEP_1)
	v_add_f64 v[2:3], v[11:12], v[4:5]
	v_add_f64 v[9:10], v[2:3], -v[11:12]
	s_delay_alu instid0(VALU_DEP_1)
	v_add_f64 v[4:5], v[4:5], -v[9:10]
.LBB3_5:                                ;   in Loop: Header=BB3_1 Depth=1
	v_mul_f64 v[8:9], v[2:3], v[2:3]
	s_delay_alu instid0(VALU_DEP_2)
	v_mul_f64 v[18:19], v[4:5], 0.5
	s_mov_b32 vcc_lo, s16
	v_cmp_lg_f64_e64 s2, 0x7ff00000, v[0:1]
	v_cndmask_b32_e64 v0, v6, 0x7ff80000, s5
	s_add_i32 s33, s33, -1
	v_lshlrev_b32_e32 v1, 30, v7
	s_cmp_eq_u32 s33, 0
	s_delay_alu instid0(VALU_DEP_1) | instskip(SKIP_4) | instid1(VALU_DEP_4)
	v_xor_b32_e32 v0, v1, v0
	v_fma_f64 v[10:11], v[8:9], s[94:95], s[92:93]
	v_fma_f64 v[12:13], v[8:9], s[84:85], s[82:83]
	v_mul_f64 v[14:15], v[8:9], 0.5
	v_mul_f64 v[20:21], v[2:3], -v[8:9]
	v_fma_f64 v[10:11], v[8:9], v[10:11], s[96:97]
	s_delay_alu instid0(VALU_DEP_4) | instskip(NEXT) | instid1(VALU_DEP_4)
	v_fma_f64 v[12:13], v[8:9], v[12:13], s[86:87]
	v_add_f64 v[16:17], -v[14:15], 1.0
	s_delay_alu instid0(VALU_DEP_3) | instskip(NEXT) | instid1(VALU_DEP_3)
	v_fma_f64 v[10:11], v[8:9], v[10:11], s[98:99]
	v_fma_f64 v[12:13], v[8:9], v[12:13], s[88:89]
	s_delay_alu instid0(VALU_DEP_3) | instskip(NEXT) | instid1(VALU_DEP_3)
	v_add_f64 v[22:23], -v[16:17], 1.0
	v_fma_f64 v[10:11], v[8:9], v[10:11], s[64:65]
	s_delay_alu instid0(VALU_DEP_3) | instskip(NEXT) | instid1(VALU_DEP_3)
	v_fma_f64 v[12:13], v[8:9], v[12:13], s[90:91]
	v_add_f64 v[14:15], v[22:23], -v[14:15]
	s_delay_alu instid0(VALU_DEP_3) | instskip(SKIP_1) | instid1(VALU_DEP_4)
	v_fma_f64 v[10:11], v[20:21], v[10:11], v[18:19]
	v_mul_f64 v[18:19], v[8:9], v[8:9]
	v_fma_f64 v[12:13], v[8:9], v[12:13], s[16:17]
	s_delay_alu instid0(VALU_DEP_4) | instskip(NEXT) | instid1(VALU_DEP_4)
	v_fma_f64 v[14:15], v[2:3], -v[4:5], v[14:15]
	v_fma_f64 v[4:5], v[8:9], v[10:11], -v[4:5]
	s_delay_alu instid0(VALU_DEP_2) | instskip(NEXT) | instid1(VALU_DEP_2)
	v_fma_f64 v[8:9], v[18:19], v[12:13], v[14:15]
	v_fma_f64 v[4:5], v[20:21], vcc, v[4:5]
	s_delay_alu instid0(VALU_DEP_2) | instskip(NEXT) | instid1(VALU_DEP_2)
	v_add_f64 v[8:9], v[16:17], v[8:9]
	v_add_f64 v[2:3], v[2:3], -v[4:5]
	v_and_b32_e32 v4, 1, v7
	s_delay_alu instid0(VALU_DEP_1) | instskip(NEXT) | instid1(VALU_DEP_3)
	v_cmp_eq_u32_e32 vcc_lo, 0, v4
	v_dual_cndmask_b32 v1, v9, v3 :: v_dual_and_b32 v0, 0x80000000, v0
	s_delay_alu instid0(VALU_DEP_4) | instskip(NEXT) | instid1(VALU_DEP_2)
	v_cndmask_b32_e32 v2, v8, v2, vcc_lo
	v_xor_b32_e32 v1, v1, v0
	s_delay_alu instid0(VALU_DEP_2) | instskip(NEXT) | instid1(VALU_DEP_2)
	v_cndmask_b32_e64 v0, 0, v2, s2
	v_cndmask_b32_e64 v1, 0x7ff80000, v1, s2
	s_waitcnt lgkmcnt(0)
	s_delay_alu instid0(VALU_DEP_1) | instskip(NEXT) | instid1(VALU_DEP_1)
	v_add_f64 v[0:1], s[8:9], v[0:1]
	v_readfirstlane_b32 s8, v0
	s_delay_alu instid0(VALU_DEP_2)
	v_readfirstlane_b32 s9, v1
	s_cbranch_scc1 .LBB3_7
; %bb.6:                                ;   in Loop: Header=BB3_1 Depth=1
	s_delay_alu instid0(VALU_DEP_1)
	s_mov_b64 s[14:15], s[8:9]
	s_branch .LBB3_1
.LBB3_7:
	v_readlane_b32 s0, v33, 0
	v_readlane_b32 s1, v33, 1
	s_load_b32 s0, s[0:1], 0x0
	s_waitcnt lgkmcnt(0)
	s_delay_alu instid0(VALU_DEP_2) | instskip(NEXT) | instid1(VALU_DEP_1)
	v_cvt_f64_i32_e32 v[0:1], s0
	v_cmp_eq_f64_e32 vcc_lo, s[8:9], v[0:1]
	s_cbranch_vccz .LBB3_9
; %bb.8:
	v_mov_b32_e32 v0, s8
	v_readlane_b32 s0, v33, 2
	v_dual_mov_b32 v2, 0 :: v_dual_mov_b32 v1, s9
	v_readlane_b32 s1, v33, 3
	global_store_b64 v2, v[0:1], s[0:1]
.LBB3_9:
	s_nop 0
	s_sendmsg sendmsg(MSG_DEALLOC_VGPRS)
	s_endpgm
	.section	.rodata,"a",@progbits
	.p2align	6, 0x0
	.amdhsa_kernel _Z9sgprboundiPd
		.amdhsa_group_segment_fixed_size 0
		.amdhsa_private_segment_fixed_size 0
		.amdhsa_kernarg_size 16
		.amdhsa_user_sgpr_count 15
		.amdhsa_user_sgpr_dispatch_ptr 0
		.amdhsa_user_sgpr_queue_ptr 0
		.amdhsa_user_sgpr_kernarg_segment_ptr 1
		.amdhsa_user_sgpr_dispatch_id 0
		.amdhsa_user_sgpr_private_segment_size 0
		.amdhsa_wavefront_size32 1
		.amdhsa_uses_dynamic_stack 0
		.amdhsa_enable_private_segment 0
		.amdhsa_system_sgpr_workgroup_id_x 1
		.amdhsa_system_sgpr_workgroup_id_y 0
		.amdhsa_system_sgpr_workgroup_id_z 0
		.amdhsa_system_sgpr_workgroup_info 0
		.amdhsa_system_vgpr_workitem_id 0
		.amdhsa_next_free_vgpr 34
		.amdhsa_next_free_sgpr 105
		.amdhsa_reserve_vcc 1
		.amdhsa_float_round_mode_32 0
		.amdhsa_float_round_mode_16_64 0
		.amdhsa_float_denorm_mode_32 3
		.amdhsa_float_denorm_mode_16_64 3
		.amdhsa_dx10_clamp 1
		.amdhsa_ieee_mode 1
		.amdhsa_fp16_overflow 0
		.amdhsa_workgroup_processor_mode 1
		.amdhsa_memory_ordered 1
		.amdhsa_forward_progress 0
		.amdhsa_shared_vgpr_count 0
		.amdhsa_exception_fp_ieee_invalid_op 0
		.amdhsa_exception_fp_denorm_src 0
		.amdhsa_exception_fp_ieee_div_zero 0
		.amdhsa_exception_fp_ieee_overflow 0
		.amdhsa_exception_fp_ieee_underflow 0
		.amdhsa_exception_fp_ieee_inexact 0
		.amdhsa_exception_int_div_zero 0
	.end_amdhsa_kernel
	.text
.Lfunc_end3:
	.size	_Z9sgprboundiPd, .Lfunc_end3-_Z9sgprboundiPd
                                        ; -- End function
	.section	.AMDGPU.csdata,"",@progbits
; Kernel info:
; codeLenInByte = 3892
; NumSgprs: 107
; NumVgprs: 34
; ScratchSize: 0
; MemoryBound: 0
; FloatMode: 240
; IeeeMode: 1
; LDSByteSize: 0 bytes/workgroup (compile time only)
; SGPRBlocks: 13
; VGPRBlocks: 4
; NumSGPRsForWavesPerEU: 107
; NumVGPRsForWavesPerEU: 34
; Occupancy: 16
; WaveLimiterHint : 0
; COMPUTE_PGM_RSRC2:SCRATCH_EN: 0
; COMPUTE_PGM_RSRC2:USER_SGPR: 15
; COMPUTE_PGM_RSRC2:TRAP_HANDLER: 0
; COMPUTE_PGM_RSRC2:TGID_X_EN: 1
; COMPUTE_PGM_RSRC2:TGID_Y_EN: 0
; COMPUTE_PGM_RSRC2:TGID_Z_EN: 0
; COMPUTE_PGM_RSRC2:TIDIG_COMP_CNT: 0
	.text
	.p2alignl 7, 3214868480
	.fill 96, 4, 3214868480
	.type	__hip_cuid_9d1d6c0c3dbf32cd,@object ; @__hip_cuid_9d1d6c0c3dbf32cd
	.section	.bss,"aw",@nobits
	.globl	__hip_cuid_9d1d6c0c3dbf32cd
__hip_cuid_9d1d6c0c3dbf32cd:
	.byte	0                               ; 0x0
	.size	__hip_cuid_9d1d6c0c3dbf32cd, 1

	.ident	"AMD clang version 19.0.0git (https://github.com/RadeonOpenCompute/llvm-project roc-6.4.0 25133 c7fe45cf4b819c5991fe208aaa96edf142730f1d)"
	.section	".note.GNU-stack","",@progbits
	.addrsig
	.addrsig_sym __hip_cuid_9d1d6c0c3dbf32cd
	.amdgpu_metadata
---
amdhsa.kernels:
  - .args:
      - .offset:         0
        .size:           4
        .value_kind:     by_value
      - .address_space:  global
        .offset:         8
        .size:           8
        .value_kind:     global_buffer
    .group_segment_fixed_size: 0
    .kernarg_segment_align: 8
    .kernarg_segment_size: 16
    .language:       OpenCL C
    .language_version:
      - 2
      - 0
    .max_flat_workgroup_size: 1024
    .name:           _Z5emptyiPd
    .private_segment_fixed_size: 0
    .sgpr_count:     0
    .sgpr_spill_count: 0
    .symbol:         _Z5emptyiPd.kd
    .uniform_work_group_size: 1
    .uses_dynamic_stack: false
    .vgpr_count:     0
    .vgpr_spill_count: 0
    .wavefront_size: 32
    .workgroup_processor_mode: 1
  - .args:
      - .offset:         0
        .size:           4
        .value_kind:     by_value
      - .address_space:  global
        .offset:         8
        .size:           8
        .value_kind:     global_buffer
    .group_segment_fixed_size: 0
    .kernarg_segment_align: 8
    .kernarg_segment_size: 16
    .language:       OpenCL C
    .language_version:
      - 2
      - 0
    .max_flat_workgroup_size: 256
    .name:           _Z9vgprboundiPd
    .private_segment_fixed_size: 0
    .sgpr_count:     104
    .sgpr_spill_count: 0
    .symbol:         _Z9vgprboundiPd.kd
    .uniform_work_group_size: 1
    .uses_dynamic_stack: false
    .vgpr_count:     71
    .vgpr_spill_count: 0
    .wavefront_size: 32
    .workgroup_processor_mode: 1
  - .args:
      - .offset:         0
        .size:           4
        .value_kind:     by_value
      - .address_space:  global
        .offset:         8
        .size:           8
        .value_kind:     global_buffer
      - .offset:         16
        .size:           4
        .value_kind:     hidden_block_count_x
      - .offset:         20
        .size:           4
        .value_kind:     hidden_block_count_y
      - .offset:         24
        .size:           4
        .value_kind:     hidden_block_count_z
      - .offset:         28
        .size:           2
        .value_kind:     hidden_group_size_x
      - .offset:         30
        .size:           2
        .value_kind:     hidden_group_size_y
      - .offset:         32
        .size:           2
        .value_kind:     hidden_group_size_z
      - .offset:         34
        .size:           2
        .value_kind:     hidden_remainder_x
      - .offset:         36
        .size:           2
        .value_kind:     hidden_remainder_y
      - .offset:         38
        .size:           2
        .value_kind:     hidden_remainder_z
      - .offset:         56
        .size:           8
        .value_kind:     hidden_global_offset_x
      - .offset:         64
        .size:           8
        .value_kind:     hidden_global_offset_y
      - .offset:         72
        .size:           8
        .value_kind:     hidden_global_offset_z
      - .offset:         80
        .size:           2
        .value_kind:     hidden_grid_dims
    .group_segment_fixed_size: 65536
    .kernarg_segment_align: 8
    .kernarg_segment_size: 272
    .language:       OpenCL C
    .language_version:
      - 2
      - 0
    .max_flat_workgroup_size: 256
    .name:           _Z8ldsboundiPd
    .private_segment_fixed_size: 0
    .sgpr_count:     105
    .sgpr_spill_count: 0
    .symbol:         _Z8ldsboundiPd.kd
    .uniform_work_group_size: 1
    .uses_dynamic_stack: false
    .vgpr_count:     41
    .vgpr_spill_count: 0
    .wavefront_size: 32
    .workgroup_processor_mode: 1
  - .args:
      - .offset:         0
        .size:           4
        .value_kind:     by_value
      - .address_space:  global
        .offset:         8
        .size:           8
        .value_kind:     global_buffer
    .group_segment_fixed_size: 0
    .kernarg_segment_align: 8
    .kernarg_segment_size: 16
    .language:       OpenCL C
    .language_version:
      - 2
      - 0
    .max_flat_workgroup_size: 1024
    .name:           _Z9sgprboundiPd
    .private_segment_fixed_size: 0
    .sgpr_count:     107
    .sgpr_spill_count: 4
    .symbol:         _Z9sgprboundiPd.kd
    .uniform_work_group_size: 1
    .uses_dynamic_stack: false
    .vgpr_count:     34
    .vgpr_spill_count: 0
    .wavefront_size: 32
    .workgroup_processor_mode: 1
amdhsa.target:   amdgcn-amd-amdhsa--gfx1100
amdhsa.version:
  - 1
  - 2
...

	.end_amdgpu_metadata
